;; amdgpu-corpus repo=ROCm/rocFFT kind=compiled arch=gfx906 opt=O3
	.text
	.amdgcn_target "amdgcn-amd-amdhsa--gfx906"
	.amdhsa_code_object_version 6
	.protected	bluestein_single_back_len1105_dim1_dp_op_CI_CI ; -- Begin function bluestein_single_back_len1105_dim1_dp_op_CI_CI
	.globl	bluestein_single_back_len1105_dim1_dp_op_CI_CI
	.p2align	8
	.type	bluestein_single_back_len1105_dim1_dp_op_CI_CI,@function
bluestein_single_back_len1105_dim1_dp_op_CI_CI: ; @bluestein_single_back_len1105_dim1_dp_op_CI_CI
; %bb.0:
	s_mov_b64 s[66:67], s[2:3]
	v_mul_u32_u24_e32 v1, 0x304, v0
	s_mov_b64 s[64:65], s[0:1]
	s_load_dwordx4 s[0:3], s[4:5], 0x28
	v_lshrrev_b32_e32 v1, 16, v1
	s_add_u32 s64, s64, s7
	v_mad_u64_u32 v[3:4], s[6:7], s6, 3, v[1:2]
	v_mov_b32_e32 v4, 0
	s_addc_u32 s65, s65, 0
	s_waitcnt lgkmcnt(0)
	v_cmp_gt_u64_e32 vcc, s[0:1], v[3:4]
	s_and_saveexec_b64 s[0:1], vcc
	s_cbranch_execz .LBB0_23
; %bb.1:
	s_mov_b32 s0, 0xaaaaaaab
	v_mul_hi_u32 v2, v3, s0
	v_mul_lo_u16_e32 v1, 0x55, v1
	s_load_dwordx2 s[12:13], s[4:5], 0x0
	s_load_dwordx2 s[14:15], s[4:5], 0x38
	v_sub_u16_e32 v255, v0, v1
	v_lshrrev_b32_e32 v0, 1, v2
	v_lshl_add_u32 v0, v0, 1, v0
	v_sub_u32_e32 v0, v3, v0
	v_mov_b32_e32 v1, v3
	v_mul_u32_u24_e32 v0, 0x451, v0
	s_movk_i32 s0, 0x41
	buffer_store_dword v1, off, s[64:67], 0 offset:24 ; 4-byte Folded Spill
	s_nop 0
	buffer_store_dword v2, off, s[64:67], 0 offset:28 ; 4-byte Folded Spill
	v_cmp_gt_u16_e64 s[0:1], s0, v255
	v_lshlrev_b32_e32 v140, 4, v255
	buffer_store_dword v0, off, s[64:67], 0 ; 4-byte Folded Spill
	v_lshlrev_b32_e32 v0, 4, v0
	buffer_store_dword v0, off, s[64:67], 0 offset:4 ; 4-byte Folded Spill
	s_and_saveexec_b64 s[16:17], s[0:1]
	s_cbranch_execz .LBB0_3
; %bb.2:
	s_load_dwordx2 s[6:7], s[4:5], 0x18
	s_waitcnt lgkmcnt(0)
	v_mov_b32_e32 v22, s13
	s_load_dwordx4 s[8:11], s[6:7], 0x0
	buffer_load_dword v0, off, s[64:67], 0 offset:24 ; 4-byte Folded Reload
	buffer_load_dword v1, off, s[64:67], 0 offset:28 ; 4-byte Folded Reload
	s_waitcnt lgkmcnt(0)
	v_mad_u64_u32 v[2:3], s[6:7], s8, v255, 0
	s_waitcnt vmcnt(1)
	v_mov_b32_e32 v4, v0
	s_waitcnt vmcnt(0)
	v_mad_u64_u32 v[0:1], s[6:7], s10, v4, 0
	v_mad_u64_u32 v[4:5], s[6:7], s11, v4, v[1:2]
	;; [unrolled: 1-line block ×3, first 2 shown]
	v_mov_b32_e32 v1, v4
	v_lshlrev_b64 v[0:1], 4, v[0:1]
	v_mov_b32_e32 v3, v5
	v_mov_b32_e32 v6, s3
	v_lshlrev_b64 v[2:3], 4, v[2:3]
	v_add_co_u32_e32 v0, vcc, s2, v0
	v_addc_co_u32_e32 v1, vcc, v6, v1, vcc
	v_add_co_u32_e32 v20, vcc, v0, v2
	v_addc_co_u32_e32 v21, vcc, v1, v3, vcc
	global_load_dwordx4 v[0:3], v140, s[12:13]
	global_load_dwordx4 v[4:7], v[20:21], off
	v_add_co_u32_e32 v108, vcc, s12, v140
	s_movk_i32 s2, 0x1000
	s_movk_i32 s3, 0x4000
	v_addc_co_u32_e32 v109, vcc, 0, v22, vcc
	v_add_co_u32_e32 v42, vcc, s2, v108
	v_add_co_u32_e64 v44, s[2:3], s3, v108
	v_addc_co_u32_e32 v43, vcc, 0, v109, vcc
	v_addc_co_u32_e64 v45, vcc, 0, v109, s[2:3]
	s_mul_i32 s2, s9, 0x410
	s_mul_hi_u32 s3, s8, 0x410
	s_mulk_i32 s8, 0x410
	s_add_i32 s2, s3, s2
	global_load_dwordx4 v[8:11], v140, s[12:13] offset:1040
	global_load_dwordx4 v[12:15], v140, s[12:13] offset:2080
	;; [unrolled: 1-line block ×3, first 2 shown]
	global_load_dwordx4 v[22:25], v[42:43], off offset:64
	global_load_dwordx4 v[26:29], v[42:43], off offset:1104
	;; [unrolled: 1-line block ×5, first 2 shown]
	v_mov_b32_e32 v42, s2
	v_add_co_u32_e32 v20, vcc, s8, v20
	v_addc_co_u32_e32 v21, vcc, v21, v42, vcc
	v_mov_b32_e32 v47, s2
	v_add_co_u32_e32 v46, vcc, s8, v20
	v_addc_co_u32_e32 v47, vcc, v21, v47, vcc
	v_mov_b32_e32 v48, s2
	global_load_dwordx4 v[42:45], v[20:21], off
	v_add_co_u32_e32 v20, vcc, s8, v46
	v_addc_co_u32_e32 v21, vcc, v47, v48, vcc
	v_mov_b32_e32 v54, s2
	v_add_co_u32_e32 v57, vcc, s8, v20
	v_addc_co_u32_e32 v58, vcc, v21, v54, vcc
	v_mov_b32_e32 v59, s2
	global_load_dwordx4 v[46:49], v[46:47], off
	v_mov_b32_e32 v62, s2
	global_load_dwordx4 v[50:53], v[20:21], off
	v_add_co_u32_e32 v20, vcc, s8, v57
	v_addc_co_u32_e32 v21, vcc, v58, v59, vcc
	v_add_co_u32_e32 v65, vcc, s8, v20
	v_addc_co_u32_e32 v66, vcc, v21, v62, vcc
	v_mov_b32_e32 v67, s2
	global_load_dwordx4 v[54:57], v[57:58], off
	s_movk_i32 s6, 0x2000
	global_load_dwordx4 v[58:61], v[20:21], off
	v_add_co_u32_e32 v20, vcc, s8, v65
	v_addc_co_u32_e32 v21, vcc, v66, v67, vcc
	v_add_co_u32_e64 v102, s[6:7], s6, v108
	v_mov_b32_e32 v70, s2
	v_add_co_u32_e32 v74, vcc, s8, v20
	v_addc_co_u32_e32 v75, vcc, v21, v70, vcc
	v_addc_co_u32_e64 v103, vcc, 0, v109, s[6:7]
	v_mov_b32_e32 v76, s2
	v_add_co_u32_e32 v86, vcc, s8, v74
	v_addc_co_u32_e32 v87, vcc, v75, v76, vcc
	v_mov_b32_e32 v88, s2
	v_add_co_u32_e32 v90, vcc, s8, v86
	v_addc_co_u32_e32 v91, vcc, v87, v88, vcc
	;; [unrolled: 3-line block ×3, first 2 shown]
	global_load_dwordx4 v[62:65], v[65:66], off
	v_add_co_u32_e32 v106, vcc, s8, v104
	global_load_dwordx4 v[66:69], v[20:21], off
	global_load_dwordx4 v[70:73], v[74:75], off
	s_nop 0
	global_load_dwordx4 v[74:77], v[86:87], off
	global_load_dwordx4 v[78:81], v[102:103], off offset:128
	global_load_dwordx4 v[82:85], v[102:103], off offset:1168
	s_movk_i32 s3, 0x3000
	global_load_dwordx4 v[86:89], v[90:91], off
	s_nop 0
	global_load_dwordx4 v[90:93], v[104:105], off
	global_load_dwordx4 v[94:97], v[102:103], off offset:2208
	global_load_dwordx4 v[98:101], v[102:103], off offset:3248
	v_mov_b32_e32 v102, s2
	v_addc_co_u32_e32 v107, vcc, v105, v102, vcc
	s_waitcnt vmcnt(23)
	v_mul_f64 v[20:21], v[6:7], v[2:3]
	v_add_co_u32_e32 v130, vcc, s3, v108
	v_mul_f64 v[138:139], v[4:5], v[2:3]
	v_addc_co_u32_e32 v131, vcc, 0, v109, vcc
	v_mov_b32_e32 v108, s2
	v_add_co_u32_e32 v118, vcc, s8, v106
	v_addc_co_u32_e32 v119, vcc, v107, v108, vcc
	v_mov_b32_e32 v120, s2
	v_add_co_u32_e32 v122, vcc, s8, v118
	;; [unrolled: 3-line block ×3, first 2 shown]
	v_addc_co_u32_e32 v135, vcc, v123, v124, vcc
	global_load_dwordx4 v[102:105], v[106:107], off
	s_nop 0
	global_load_dwordx4 v[106:109], v[118:119], off
	global_load_dwordx4 v[110:113], v[130:131], off offset:192
	global_load_dwordx4 v[114:117], v[130:131], off offset:1232
	v_fma_f64 v[2:3], v[4:5], v[0:1], v[20:21]
	global_load_dwordx4 v[118:121], v[122:123], off
	s_nop 0
	global_load_dwordx4 v[122:125], v[134:135], off
	global_load_dwordx4 v[126:129], v[130:131], off offset:2272
	s_nop 0
	global_load_dwordx4 v[130:133], v[130:131], off offset:3312
	v_fma_f64 v[4:5], v[6:7], v[0:1], -v[138:139]
	buffer_load_dword v138, off, s[64:67], 0 offset:4 ; 4-byte Folded Reload
	v_mov_b32_e32 v136, s2
	v_add_co_u32_e32 v134, vcc, s8, v134
	v_addc_co_u32_e32 v135, vcc, v135, v136, vcc
	global_load_dwordx4 v[134:137], v[134:135], off
	s_waitcnt vmcnt(24)
	v_mul_f64 v[0:1], v[44:45], v[10:11]
	s_waitcnt vmcnt(21)
	v_mul_f64 v[20:21], v[54:55], v[24:25]
	v_fma_f64 v[0:1], v[42:43], v[8:9], v[0:1]
	s_waitcnt vmcnt(1)
	v_lshl_add_u32 v6, v255, 4, v138
	ds_write_b128 v6, v[2:5]
	v_mul_f64 v[2:3], v[42:43], v[10:11]
	v_mul_f64 v[4:5], v[48:49], v[14:15]
	;; [unrolled: 1-line block ×7, first 2 shown]
	v_add_u32_e32 v42, v138, v140
	v_fma_f64 v[2:3], v[44:45], v[8:9], -v[2:3]
	v_fma_f64 v[4:5], v[46:47], v[12:13], v[4:5]
	v_fma_f64 v[6:7], v[48:49], v[12:13], -v[6:7]
	v_fma_f64 v[8:9], v[50:51], v[16:17], v[10:11]
	;; [unrolled: 2-line block ×3, first 2 shown]
	v_mul_f64 v[16:17], v[60:61], v[28:29]
	v_mul_f64 v[18:19], v[58:59], v[28:29]
	v_fma_f64 v[14:15], v[56:57], v[22:23], -v[20:21]
	v_mul_f64 v[20:21], v[64:65], v[32:33]
	v_mul_f64 v[22:23], v[62:63], v[32:33]
	;; [unrolled: 1-line block ×5, first 2 shown]
	v_fma_f64 v[16:17], v[58:59], v[26:27], v[16:17]
	v_fma_f64 v[18:19], v[60:61], v[26:27], -v[18:19]
	v_fma_f64 v[24:25], v[66:67], v[34:35], v[24:25]
	v_fma_f64 v[20:21], v[62:63], v[30:31], v[20:21]
	v_fma_f64 v[22:23], v[64:65], v[30:31], -v[22:23]
	v_fma_f64 v[26:27], v[68:69], v[34:35], -v[28:29]
	v_fma_f64 v[28:29], v[70:71], v[78:79], v[32:33]
	v_fma_f64 v[30:31], v[72:73], v[78:79], -v[36:37]
	ds_write_b128 v42, v[0:3] offset:1040
	ds_write_b128 v42, v[4:7] offset:2080
	;; [unrolled: 1-line block ×8, first 2 shown]
	v_mul_f64 v[0:1], v[76:77], v[84:85]
	v_mul_f64 v[2:3], v[74:75], v[84:85]
	;; [unrolled: 1-line block ×14, first 2 shown]
	s_waitcnt vmcnt(0)
	v_mul_f64 v[28:29], v[136:137], v[40:41]
	v_mul_f64 v[30:31], v[134:135], v[40:41]
	v_fma_f64 v[0:1], v[74:75], v[82:83], v[0:1]
	v_fma_f64 v[2:3], v[76:77], v[82:83], -v[2:3]
	v_fma_f64 v[4:5], v[86:87], v[94:95], v[4:5]
	v_fma_f64 v[6:7], v[88:89], v[94:95], -v[6:7]
	;; [unrolled: 2-line block ×8, first 2 shown]
	ds_write_b128 v42, v[0:3] offset:9360
	ds_write_b128 v42, v[4:7] offset:10400
	;; [unrolled: 1-line block ×8, first 2 shown]
.LBB0_3:
	s_or_b64 exec, exec, s[16:17]
	s_load_dwordx2 s[2:3], s[4:5], 0x20
	s_load_dwordx2 s[8:9], s[4:5], 0x8
	s_waitcnt vmcnt(0) lgkmcnt(0)
	s_barrier
	s_waitcnt lgkmcnt(0)
                                        ; implicit-def: $vgpr8_vgpr9
                                        ; implicit-def: $vgpr68_vgpr69
                                        ; implicit-def: $vgpr72_vgpr73
                                        ; implicit-def: $vgpr64_vgpr65
                                        ; implicit-def: $vgpr60_vgpr61
                                        ; implicit-def: $vgpr56_vgpr57
                                        ; implicit-def: $vgpr52_vgpr53
                                        ; implicit-def: $vgpr12_vgpr13
                                        ; implicit-def: $vgpr16_vgpr17
                                        ; implicit-def: $vgpr20_vgpr21
                                        ; implicit-def: $vgpr24_vgpr25
                                        ; implicit-def: $vgpr28_vgpr29
                                        ; implicit-def: $vgpr32_vgpr33
                                        ; implicit-def: $vgpr36_vgpr37
                                        ; implicit-def: $vgpr40_vgpr41
                                        ; implicit-def: $vgpr44_vgpr45
                                        ; implicit-def: $vgpr48_vgpr49
	s_and_saveexec_b64 s[4:5], s[0:1]
	s_cbranch_execz .LBB0_5
; %bb.4:
	buffer_load_dword v0, off, s[64:67], 0  ; 4-byte Folded Reload
	s_waitcnt vmcnt(0)
	v_lshl_add_u32 v0, v0, 4, v140
	ds_read_b128 v[8:11], v0
	ds_read_b128 v[68:71], v0 offset:1040
	ds_read_b128 v[72:75], v0 offset:2080
	;; [unrolled: 1-line block ×16, first 2 shown]
.LBB0_5:
	s_or_b64 exec, exec, s[4:5]
	s_waitcnt lgkmcnt(0)
	v_add_f64 v[203:204], v[70:71], -v[50:51]
	v_add_f64 v[130:131], v[68:69], -v[48:49]
	s_mov_b32 s38, 0x2a9d6da3
	s_mov_b32 s24, 0x7c9e640b
	;; [unrolled: 1-line block ×4, first 2 shown]
	v_add_f64 v[94:95], v[68:69], v[48:49]
	v_add_f64 v[96:97], v[70:71], v[50:51]
	v_mul_f64 v[160:161], v[203:204], s[24:25]
	v_mul_f64 v[158:159], v[130:131], s[38:39]
	v_add_f64 v[156:157], v[72:73], -v[44:45]
	v_add_f64 v[233:234], v[74:75], -v[46:47]
	s_mov_b32 s10, 0x75d4884
	s_mov_b32 s6, 0x2b2883cd
	;; [unrolled: 1-line block ×8, first 2 shown]
	v_fma_f64 v[6:7], v[96:97], s[10:11], -v[158:159]
	v_fma_f64 v[76:77], v[94:95], s[6:7], v[160:161]
	v_add_f64 v[126:127], v[72:73], v[44:45]
	v_add_f64 v[128:129], v[74:75], v[46:47]
	v_mul_f64 v[172:173], v[156:157], s[44:45]
	v_mul_f64 v[180:181], v[233:234], s[26:27]
	s_mov_b32 s16, 0x3259b75e
	s_mov_b32 s18, 0x6ed5f1bb
	;; [unrolled: 1-line block ×4, first 2 shown]
	v_add_f64 v[6:7], v[10:11], v[6:7]
	v_add_f64 v[76:77], v[8:9], v[76:77]
	v_mul_f64 v[90:91], v[156:157], s[26:27]
	v_fma_f64 v[86:87], v[128:129], s[16:17], -v[172:173]
	v_fma_f64 v[88:89], v[126:127], s[18:19], v[180:181]
	v_add_f64 v[243:244], v[66:67], -v[42:43]
	v_add_f64 v[186:187], v[64:65], -v[40:41]
	s_mov_b32 s34, 0xacd6c6b4
	s_mov_b32 s35, 0xbfc7851a
	;; [unrolled: 1-line block ×4, first 2 shown]
	buffer_store_dword v90, off, s[64:67], 0 offset:88 ; 4-byte Folded Spill
	s_nop 0
	buffer_store_dword v91, off, s[64:67], 0 offset:92 ; 4-byte Folded Spill
	v_add_f64 v[6:7], v[86:87], v[6:7]
	v_add_f64 v[76:77], v[88:89], v[76:77]
	v_mul_f64 v[86:87], v[186:187], s[26:27]
	v_mul_f64 v[88:89], v[243:244], s[48:49]
	buffer_store_dword v86, off, s[64:67], 0 offset:72 ; 4-byte Folded Spill
	s_nop 0
	buffer_store_dword v87, off, s[64:67], 0 offset:76 ; 4-byte Folded Spill
	buffer_store_dword v88, off, s[64:67], 0 offset:104 ; 4-byte Folded Spill
	s_nop 0
	buffer_store_dword v89, off, s[64:67], 0 offset:108 ; 4-byte Folded Spill
	s_mov_b32 s20, 0x5d8e7cdc
	s_mov_b32 s21, 0xbfd71e95
	v_mul_f64 v[142:143], v[130:131], s[20:21]
	s_mov_b32 s4, 0x370991
	s_mov_b32 s5, 0x3fedd6d0
	v_mul_f64 v[148:149], v[203:204], s[38:39]
	v_mul_f64 v[174:175], v[130:131], s[24:25]
	;; [unrolled: 1-line block ×4, first 2 shown]
	v_add_f64 v[146:147], v[66:67], v[42:43]
	v_fma_f64 v[2:3], v[96:97], s[4:5], -v[142:143]
	v_mul_f64 v[168:169], v[186:187], s[24:25]
	v_add_f64 v[144:145], v[64:65], v[40:41]
	v_fma_f64 v[4:5], v[94:95], s[10:11], v[148:149]
	v_fma_f64 v[78:79], v[96:97], s[6:7], -v[174:175]
	v_fma_f64 v[82:83], v[128:129], s[10:11], -v[152:153]
	v_fma_f64 v[84:85], v[126:127], s[16:17], v[154:155]
	v_mul_f64 v[170:171], v[243:244], s[26:27]
	v_add_f64 v[2:3], v[10:11], v[2:3]
	v_add_f64 v[207:208], v[60:61], -v[36:37]
	s_mov_b32 s22, 0x7faef3
	v_add_f64 v[4:5], v[8:9], v[4:5]
	v_add_f64 v[78:79], v[10:11], v[78:79]
	s_mov_b32 s23, 0xbfef7484
	v_add_f64 v[247:248], v[62:63], -v[38:39]
	s_mov_b32 s50, 0x923c349f
	v_add_f64 v[2:3], v[82:83], v[2:3]
	v_fma_f64 v[82:83], v[146:147], s[6:7], -v[168:169]
	s_mov_b32 s51, 0x3feec746
	v_add_f64 v[4:5], v[84:85], v[4:5]
	v_fma_f64 v[84:85], v[144:145], s[18:19], v[170:171]
	v_add_f64 v[164:165], v[62:63], v[38:39]
	v_add_f64 v[162:163], v[60:61], v[36:37]
	v_add_f64 v[253:254], v[58:59], -v[34:35]
	s_mov_b32 s28, 0xc61f0d01
	v_add_f64 v[2:3], v[82:83], v[2:3]
	v_mul_f64 v[82:83], v[207:208], s[44:45]
	s_mov_b32 s29, 0xbfd183b1
	v_add_f64 v[4:5], v[84:85], v[4:5]
	v_mul_f64 v[84:85], v[247:248], s[34:35]
	s_mov_b32 s41, 0xbfeec746
	s_mov_b32 s40, s50
	v_add_f64 v[223:224], v[56:57], -v[32:33]
	s_mov_b32 s42, 0x4363dd80
	s_mov_b32 s43, 0x3fe0d888
	v_mul_f64 v[140:141], v[203:204], s[20:21]
	v_mul_f64 v[150:151], v[233:234], s[38:39]
	;; [unrolled: 1-line block ×5, first 2 shown]
	v_add_f64 v[176:177], v[56:57], v[32:33]
	v_add_f64 v[178:179], v[58:59], v[34:35]
	v_add_f64 v[132:133], v[54:55], -v[30:31]
	v_fma_f64 v[0:1], v[94:95], s[4:5], v[140:141]
	v_fma_f64 v[80:81], v[126:127], s[10:11], v[150:151]
	v_add_f64 v[239:240], v[52:53], -v[28:29]
	s_mov_b32 s30, 0x910ea3b9
	s_mov_b32 s31, 0xbfeb34fa
	;; [unrolled: 1-line block ×4, first 2 shown]
	v_mul_f64 v[211:212], v[223:224], s[46:47]
	v_add_f64 v[0:1], v[8:9], v[0:1]
	v_add_f64 v[198:199], v[52:53], v[28:29]
	v_add_f64 v[136:137], v[14:15], -v[26:27]
	s_mov_b32 s55, 0xbfe0d888
	s_mov_b32 s54, s42
	v_fma_f64 v[90:91], v[128:129], s[18:19], -v[90:91]
	v_mul_f64 v[92:93], v[203:204], s[44:45]
	v_mul_f64 v[190:191], v[253:254], s[46:47]
	v_add_f64 v[0:1], v[80:81], v[0:1]
	v_fma_f64 v[80:81], v[144:145], s[6:7], v[166:167]
	v_add_f64 v[201:202], v[54:55], v[30:31]
	v_add_f64 v[245:246], v[12:13], -v[24:25]
	v_mul_f64 v[196:197], v[239:240], s[50:51]
	v_add_f64 v[78:79], v[90:91], v[78:79]
	v_mul_f64 v[90:91], v[186:187], s[48:49]
	buffer_store_dword v90, off, s[64:67], 0 offset:184 ; 4-byte Folded Spill
	s_nop 0
	buffer_store_dword v91, off, s[64:67], 0 offset:188 ; 4-byte Folded Spill
	v_fma_f64 v[86:87], v[146:147], s[18:19], -v[86:87]
	v_fma_f64 v[88:89], v[144:145], s[22:23], v[88:89]
	buffer_store_dword v82, off, s[64:67], 0 offset:32 ; 4-byte Folded Spill
	s_nop 0
	buffer_store_dword v83, off, s[64:67], 0 offset:36 ; 4-byte Folded Spill
	buffer_store_dword v84, off, s[64:67], 0 offset:40 ; 4-byte Folded Spill
	s_nop 0
	buffer_store_dword v85, off, s[64:67], 0 offset:44 ; 4-byte Folded Spill
	v_add_f64 v[0:1], v[80:81], v[0:1]
	v_mul_f64 v[194:195], v[132:133], s[20:21]
	v_mul_f64 v[225:226], v[239:240], s[20:21]
	v_add_f64 v[217:218], v[12:13], v[24:25]
	v_add_f64 v[6:7], v[86:87], v[6:7]
	;; [unrolled: 1-line block ×3, first 2 shown]
	v_mul_f64 v[86:87], v[207:208], s[34:35]
	v_mul_f64 v[88:89], v[247:248], s[50:51]
	buffer_store_dword v86, off, s[64:67], 0 offset:168 ; 4-byte Folded Spill
	s_nop 0
	buffer_store_dword v87, off, s[64:67], 0 offset:172 ; 4-byte Folded Spill
	buffer_store_dword v88, off, s[64:67], 0 offset:232 ; 4-byte Folded Spill
	s_nop 0
	buffer_store_dword v89, off, s[64:67], 0 offset:236 ; 4-byte Folded Spill
	v_add_f64 v[221:222], v[14:15], v[26:27]
	v_mul_f64 v[184:185], v[245:246], s[54:55]
	s_mov_b32 s57, 0x3feca52d
	s_mov_b32 s56, s24
	v_mul_f64 v[192:193], v[136:137], s[56:57]
	v_mul_f64 v[219:220], v[245:246], s[56:57]
	;; [unrolled: 1-line block ×3, first 2 shown]
	v_add_f64 v[138:139], v[18:19], -v[22:23]
	v_add_f64 v[249:250], v[16:17], -v[20:21]
	s_mov_b32 s53, 0x3fd71e95
	s_mov_b32 s52, s20
	v_mul_f64 v[241:242], v[245:246], s[44:45]
	v_add_f64 v[229:230], v[16:17], v[20:21]
	v_add_f64 v[231:232], v[18:19], v[22:23]
	v_mul_f64 v[251:252], v[233:234], s[34:35]
	v_mul_f64 v[205:206], v[138:139], s[34:35]
	;; [unrolled: 1-line block ×14, first 2 shown]
	s_mov_b32 s61, 0x3fe9895b
	s_mov_b32 s60, s26
	v_mul_f64 v[100:101], v[136:137], s[60:61]
	v_mul_f64 v[124:125], v[245:246], s[60:61]
	;; [unrolled: 1-line block ×4, first 2 shown]
	v_fma_f64 v[80:81], v[146:147], s[22:23], -v[90:91]
	v_mul_f64 v[90:91], v[132:133], s[50:51]
	v_fma_f64 v[82:83], v[164:165], s[16:17], -v[82:83]
	v_fma_f64 v[84:85], v[162:163], s[22:23], v[84:85]
	v_add_f64 v[78:79], v[80:81], v[78:79]
	v_fma_f64 v[80:81], v[162:163], s[16:17], v[182:183]
	v_add_f64 v[2:3], v[82:83], v[2:3]
	v_mul_f64 v[82:83], v[253:254], s[40:41]
	v_add_f64 v[4:5], v[84:85], v[4:5]
	v_mul_f64 v[84:85], v[223:224], s[40:41]
	buffer_store_dword v82, off, s[64:67], 0 offset:120 ; 4-byte Folded Spill
	s_nop 0
	buffer_store_dword v83, off, s[64:67], 0 offset:124 ; 4-byte Folded Spill
	v_fma_f64 v[86:87], v[164:165], s[22:23], -v[86:87]
	v_fma_f64 v[88:89], v[162:163], s[28:29], v[88:89]
	buffer_store_dword v84, off, s[64:67], 0 offset:136 ; 4-byte Folded Spill
	s_nop 0
	buffer_store_dword v85, off, s[64:67], 0 offset:140 ; 4-byte Folded Spill
	v_add_f64 v[0:1], v[80:81], v[0:1]
	v_fma_f64 v[80:81], v[164:165], s[28:29], -v[188:189]
	v_add_f64 v[6:7], v[86:87], v[6:7]
	v_add_f64 v[76:77], v[88:89], v[76:77]
	v_mul_f64 v[86:87], v[253:254], s[42:43]
	v_mul_f64 v[88:89], v[223:224], s[42:43]
	buffer_store_dword v86, off, s[64:67], 0 offset:152 ; 4-byte Folded Spill
	s_nop 0
	buffer_store_dword v87, off, s[64:67], 0 offset:156 ; 4-byte Folded Spill
	buffer_store_dword v88, off, s[64:67], 0 offset:240 ; 4-byte Folded Spill
	s_nop 0
	buffer_store_dword v89, off, s[64:67], 0 offset:244 ; 4-byte Folded Spill
	v_add_f64 v[78:79], v[80:81], v[78:79]
	v_fma_f64 v[80:81], v[176:177], s[28:29], v[82:83]
	v_fma_f64 v[82:83], v[178:179], s[28:29], -v[84:85]
	v_add_f64 v[0:1], v[80:81], v[0:1]
	v_add_f64 v[2:3], v[82:83], v[2:3]
	v_fma_f64 v[82:83], v[176:177], s[10:11], v[190:191]
	v_fma_f64 v[84:85], v[176:177], s[30:31], v[86:87]
	v_fma_f64 v[80:81], v[178:179], s[30:31], -v[88:89]
	v_mul_f64 v[86:87], v[132:133], s[26:27]
	v_mul_f64 v[88:89], v[239:240], s[26:27]
	buffer_store_dword v86, off, s[64:67], 0 offset:200 ; 4-byte Folded Spill
	s_nop 0
	buffer_store_dword v87, off, s[64:67], 0 offset:204 ; 4-byte Folded Spill
	buffer_store_dword v88, off, s[64:67], 0 offset:216 ; 4-byte Folded Spill
	s_nop 0
	buffer_store_dword v89, off, s[64:67], 0 offset:220 ; 4-byte Folded Spill
	;; [unrolled: 3-line block ×3, first 2 shown]
	v_add_f64 v[4:5], v[84:85], v[4:5]
	v_fma_f64 v[84:85], v[178:179], s[10:11], -v[211:212]
	v_add_f64 v[6:7], v[80:81], v[6:7]
	v_add_f64 v[76:77], v[82:83], v[76:77]
	;; [unrolled: 1-line block ×3, first 2 shown]
	v_fma_f64 v[80:81], v[198:199], s[18:19], v[86:87]
	v_fma_f64 v[82:83], v[201:202], s[18:19], -v[88:89]
	v_fma_f64 v[84:85], v[198:199], s[28:29], v[90:91]
	v_mul_f64 v[90:91], v[136:137], s[54:55]
	buffer_store_dword v90, off, s[64:67], 0 offset:248 ; 4-byte Folded Spill
	s_nop 0
	buffer_store_dword v91, off, s[64:67], 0 offset:252 ; 4-byte Folded Spill
	buffer_store_dword v92, off, s[64:67], 0 offset:56 ; 4-byte Folded Spill
	s_nop 0
	buffer_store_dword v93, off, s[64:67], 0 offset:60 ; 4-byte Folded Spill
	v_fma_f64 v[86:87], v[201:202], s[28:29], -v[196:197]
	v_fma_f64 v[88:89], v[198:199], s[4:5], v[194:195]
	v_add_f64 v[0:1], v[80:81], v[0:1]
	v_add_f64 v[2:3], v[82:83], v[2:3]
	;; [unrolled: 1-line block ×3, first 2 shown]
	v_fma_f64 v[80:81], v[201:202], s[4:5], -v[225:226]
	v_fma_f64 v[84:85], v[221:222], s[30:31], -v[184:185]
	v_add_f64 v[6:7], v[86:87], v[6:7]
	v_add_f64 v[76:77], v[88:89], v[76:77]
	v_fma_f64 v[88:89], v[231:232], s[4:5], -v[227:228]
	v_fma_f64 v[86:87], v[229:230], s[4:5], v[213:214]
	v_add_f64 v[78:79], v[80:81], v[78:79]
	v_add_f64 v[2:3], v[84:85], v[2:3]
	v_fma_f64 v[80:81], v[217:218], s[6:7], v[192:193]
	v_fma_f64 v[84:85], v[217:218], s[16:17], v[215:216]
	v_add_f64 v[4:5], v[80:81], v[4:5]
	v_fma_f64 v[80:81], v[221:222], s[16:17], -v[241:242]
	v_add_f64 v[76:77], v[84:85], v[76:77]
	v_fma_f64 v[84:85], v[231:232], s[22:23], -v[209:210]
	v_add_f64 v[4:5], v[86:87], v[4:5]
	v_add_f64 v[78:79], v[80:81], v[78:79]
	;; [unrolled: 1-line block ×3, first 2 shown]
	v_fma_f64 v[84:85], v[231:232], s[30:31], -v[237:238]
	v_add_f64 v[106:107], v[84:85], v[78:79]
	v_fma_f64 v[82:83], v[217:218], s[30:31], v[90:91]
	v_fma_f64 v[80:81], v[94:95], s[16:17], v[92:93]
	v_mul_f64 v[90:91], v[247:248], s[52:53]
	v_mul_f64 v[92:93], v[138:139], s[46:47]
	v_add_f64 v[0:1], v[82:83], v[0:1]
	v_fma_f64 v[82:83], v[221:222], s[6:7], -v[219:220]
	v_add_f64 v[80:81], v[8:9], v[80:81]
	v_add_f64 v[6:7], v[82:83], v[6:7]
	v_fma_f64 v[82:83], v[229:230], s[22:23], v[205:206]
	v_add_f64 v[6:7], v[88:89], v[6:7]
	v_add_f64 v[0:1], v[82:83], v[0:1]
	v_fma_f64 v[82:83], v[229:230], s[30:31], v[235:236]
	v_mul_f64 v[88:89], v[130:131], s[44:45]
	buffer_store_dword v4, off, s[64:67], 0 offset:8 ; 4-byte Folded Spill
	s_nop 0
	buffer_store_dword v5, off, s[64:67], 0 offset:12 ; 4-byte Folded Spill
	buffer_store_dword v6, off, s[64:67], 0 offset:16 ; 4-byte Folded Spill
	;; [unrolled: 1-line block ×3, first 2 shown]
	v_mov_b32_e32 v7, v3
	v_add_f64 v[104:105], v[82:83], v[76:77]
	v_fma_f64 v[76:77], v[126:127], s[22:23], v[251:252]
	v_fma_f64 v[78:79], v[96:97], s[16:17], -v[88:89]
	v_mov_b32_e32 v6, v2
	v_mov_b32_e32 v5, v1
	;; [unrolled: 1-line block ×3, first 2 shown]
	s_waitcnt vmcnt(0)
	s_barrier
	v_add_f64 v[76:77], v[76:77], v[80:81]
	v_add_f64 v[78:79], v[10:11], v[78:79]
	v_fma_f64 v[80:81], v[128:129], s[22:23], -v[114:115]
	v_add_f64 v[78:79], v[80:81], v[78:79]
	v_fma_f64 v[80:81], v[144:145], s[28:29], v[98:99]
	v_add_f64 v[76:77], v[80:81], v[76:77]
	v_fma_f64 v[80:81], v[146:147], s[28:29], -v[118:119]
	v_add_f64 v[78:79], v[80:81], v[78:79]
	v_fma_f64 v[80:81], v[162:163], s[4:5], v[90:91]
	;; [unrolled: 4-line block ×6, first 2 shown]
	v_add_f64 v[108:109], v[80:81], v[76:77]
	v_fma_f64 v[76:77], v[231:232], s[10:11], -v[134:135]
	v_add_f64 v[110:111], v[76:77], v[78:79]
	s_and_saveexec_b64 s[36:37], s[0:1]
	s_cbranch_execz .LBB0_7
; %bb.6:
	v_mul_f64 v[80:81], v[96:97], s[22:23]
	v_mul_f64 v[82:83], v[128:129], s[4:5]
	;; [unrolled: 1-line block ×4, first 2 shown]
	buffer_store_dword v140, off, s[64:67], 0 offset:272 ; 4-byte Folded Spill
	s_nop 0
	buffer_store_dword v141, off, s[64:67], 0 offset:276 ; 4-byte Folded Spill
	buffer_store_dword v142, off, s[64:67], 0 offset:320 ; 4-byte Folded Spill
	s_nop 0
	buffer_store_dword v143, off, s[64:67], 0 offset:324 ; 4-byte Folded Spill
	;; [unrolled: 3-line block ×4, first 2 shown]
	v_fma_f64 v[76:77], v[130:131], s[48:49], v[80:81]
	v_fma_f64 v[78:79], v[156:157], s[20:21], v[82:83]
	buffer_store_dword v152, off, s[64:67], 0 offset:328 ; 4-byte Folded Spill
	s_nop 0
	buffer_store_dword v153, off, s[64:67], 0 offset:332 ; 4-byte Folded Spill
	v_fma_f64 v[140:141], v[126:127], s[4:5], v[86:87]
	v_fma_f64 v[80:81], v[130:131], s[34:35], v[80:81]
	;; [unrolled: 1-line block ×3, first 2 shown]
	buffer_store_dword v154, off, s[64:67], 0 offset:344 ; 4-byte Folded Spill
	s_nop 0
	buffer_store_dword v155, off, s[64:67], 0 offset:348 ; 4-byte Folded Spill
	buffer_store_dword v158, off, s[64:67], 0 offset:368 ; 4-byte Folded Spill
	s_nop 0
	buffer_store_dword v159, off, s[64:67], 0 offset:372 ; 4-byte Folded Spill
	v_add_f64 v[76:77], v[10:11], v[76:77]
	buffer_store_dword v160, off, s[64:67], 0 offset:376 ; 4-byte Folded Spill
	s_nop 0
	buffer_store_dword v161, off, s[64:67], 0 offset:380 ; 4-byte Folded Spill
	buffer_store_dword v166, off, s[64:67], 0 offset:336 ; 4-byte Folded Spill
	s_nop 0
	buffer_store_dword v167, off, s[64:67], 0 offset:340 ; 4-byte Folded Spill
	;; [unrolled: 3-line block ×3, first 2 shown]
	v_add_f64 v[80:81], v[10:11], v[80:81]
	buffer_store_dword v170, off, s[64:67], 0 offset:360 ; 4-byte Folded Spill
	s_nop 0
	buffer_store_dword v171, off, s[64:67], 0 offset:364 ; 4-byte Folded Spill
	s_mov_b32 s59, 0x3fefdd0d
	s_mov_b32 s58, s44
	v_add_f64 v[76:77], v[78:79], v[76:77]
	v_fma_f64 v[78:79], v[94:95], s[22:23], v[84:85]
	buffer_store_dword v172, off, s[64:67], 0 offset:384 ; 4-byte Folded Spill
	s_nop 0
	buffer_store_dword v173, off, s[64:67], 0 offset:388 ; 4-byte Folded Spill
	buffer_store_dword v174, off, s[64:67], 0 offset:400 ; 4-byte Folded Spill
	s_nop 0
	buffer_store_dword v175, off, s[64:67], 0 offset:404 ; 4-byte Folded Spill
	v_add_f64 v[80:81], v[82:83], v[80:81]
	v_fma_f64 v[82:83], v[94:95], s[22:23], -v[84:85]
	v_fma_f64 v[84:85], v[126:127], s[4:5], -v[86:87]
	v_mul_f64 v[172:173], v[231:232], s[16:17]
	v_mul_f64 v[174:175], v[138:139], s[58:59]
	v_add_f64 v[78:79], v[8:9], v[78:79]
	v_add_f64 v[68:69], v[8:9], v[68:69]
	;; [unrolled: 1-line block ×4, first 2 shown]
	v_fma_f64 v[86:87], v[229:230], s[16:17], -v[174:175]
	v_add_f64 v[78:79], v[140:141], v[78:79]
	v_mul_f64 v[140:141], v[146:147], s[30:31]
	v_add_f64 v[72:73], v[68:69], v[72:73]
	v_add_f64 v[74:75], v[70:71], v[74:75]
	;; [unrolled: 1-line block ×3, first 2 shown]
	v_fma_f64 v[142:143], v[186:187], s[42:43], v[140:141]
	v_fma_f64 v[84:85], v[186:187], s[54:55], v[140:141]
	v_mul_f64 v[140:141], v[96:97], s[30:31]
	v_add_f64 v[72:73], v[72:73], v[64:65]
	v_add_f64 v[74:75], v[74:75], v[66:67]
	;; [unrolled: 1-line block ×3, first 2 shown]
	v_mul_f64 v[142:143], v[243:244], s[54:55]
	v_add_f64 v[80:81], v[84:85], v[80:81]
	v_fma_f64 v[68:69], v[130:131], s[54:55], v[140:141]
	v_add_f64 v[72:73], v[72:73], v[60:61]
	v_add_f64 v[74:75], v[74:75], v[62:63]
	v_fma_f64 v[148:149], v[144:145], s[30:31], v[142:143]
	v_fma_f64 v[84:85], v[144:145], s[30:31], -v[142:143]
	v_mul_f64 v[142:143], v[128:129], s[6:7]
	v_add_f64 v[68:69], v[10:11], v[68:69]
	v_add_f64 v[72:73], v[72:73], v[56:57]
	v_add_f64 v[74:75], v[74:75], v[58:59]
	v_add_f64 v[78:79], v[148:149], v[78:79]
	v_mul_f64 v[148:149], v[164:165], s[10:11]
	v_add_f64 v[82:83], v[84:85], v[82:83]
	v_fma_f64 v[70:71], v[156:157], s[56:57], v[142:143]
	v_add_f64 v[72:73], v[72:73], v[52:53]
	v_add_f64 v[54:55], v[74:75], v[54:55]
	v_fma_f64 v[150:151], v[207:208], s[38:39], v[148:149]
	v_fma_f64 v[84:85], v[207:208], s[46:47], v[148:149]
	v_mul_f64 v[148:149], v[146:147], s[16:17]
	v_add_f64 v[68:69], v[70:71], v[68:69]
	v_add_f64 v[12:13], v[72:73], v[12:13]
	;; [unrolled: 1-line block ×4, first 2 shown]
	v_mul_f64 v[150:151], v[247:248], s[46:47]
	v_add_f64 v[80:81], v[84:85], v[80:81]
	v_fma_f64 v[70:71], v[186:187], s[44:45], v[148:149]
	v_add_f64 v[12:13], v[12:13], v[16:17]
	v_add_f64 v[14:15], v[14:15], v[18:19]
	v_fma_f64 v[152:153], v[162:163], s[10:11], v[150:151]
	v_fma_f64 v[84:85], v[162:163], s[10:11], -v[150:151]
	v_mul_f64 v[150:151], v[164:165], s[18:19]
	v_add_f64 v[68:69], v[70:71], v[68:69]
	v_add_f64 v[12:13], v[12:13], v[20:21]
	v_add_f64 v[14:15], v[14:15], v[22:23]
	v_add_f64 v[78:79], v[152:153], v[78:79]
	v_mul_f64 v[152:153], v[178:179], s[18:19]
	v_add_f64 v[82:83], v[84:85], v[82:83]
	v_fma_f64 v[70:71], v[207:208], s[60:61], v[150:151]
	v_add_f64 v[12:13], v[12:13], v[24:25]
	v_add_f64 v[14:15], v[14:15], v[26:27]
	v_fma_f64 v[154:155], v[223:224], s[60:61], v[152:153]
	v_fma_f64 v[84:85], v[223:224], s[26:27], v[152:153]
	v_mul_f64 v[152:153], v[178:179], s[4:5]
	v_add_f64 v[68:69], v[70:71], v[68:69]
	v_add_f64 v[14:15], v[14:15], v[30:31]
	;; [unrolled: 1-line block ×4, first 2 shown]
	v_mul_f64 v[154:155], v[253:254], s[26:27]
	v_add_f64 v[80:81], v[84:85], v[80:81]
	v_fma_f64 v[70:71], v[223:224], s[20:21], v[152:153]
	v_add_f64 v[14:15], v[14:15], v[34:35]
	v_add_f64 v[12:13], v[12:13], v[32:33]
	v_fma_f64 v[158:159], v[176:177], s[18:19], v[154:155]
	v_add_f64 v[68:69], v[70:71], v[68:69]
	v_add_f64 v[14:15], v[14:15], v[38:39]
	;; [unrolled: 1-line block ×4, first 2 shown]
	v_mul_f64 v[158:159], v[201:202], s[6:7]
	v_add_f64 v[14:15], v[14:15], v[42:43]
	v_add_f64 v[12:13], v[12:13], v[40:41]
	v_fma_f64 v[160:161], v[239:240], s[24:25], v[158:159]
	v_fma_f64 v[84:85], v[239:240], s[56:57], v[158:159]
	v_mul_f64 v[158:159], v[221:222], s[10:11]
	v_add_f64 v[30:31], v[14:15], v[46:47]
	v_add_f64 v[12:13], v[12:13], v[44:45]
	;; [unrolled: 1-line block ×3, first 2 shown]
	v_mul_f64 v[160:161], v[132:133], s[56:57]
	v_add_f64 v[80:81], v[84:85], v[80:81]
	v_fma_f64 v[166:167], v[198:199], s[6:7], v[160:161]
	v_add_f64 v[78:79], v[166:167], v[78:79]
	v_mul_f64 v[166:167], v[221:222], s[28:29]
	v_fma_f64 v[84:85], v[245:246], s[40:41], v[166:167]
	v_fma_f64 v[168:169], v[245:246], s[50:51], v[166:167]
	v_mul_f64 v[166:167], v[233:234], s[56:57]
	v_add_f64 v[80:81], v[84:85], v[80:81]
	v_fma_f64 v[84:85], v[176:177], s[18:19], -v[154:155]
	v_add_f64 v[76:77], v[168:169], v[76:77]
	v_mul_f64 v[168:169], v[136:137], s[40:41]
	v_mul_f64 v[154:155], v[201:202], s[22:23]
	v_add_f64 v[82:83], v[84:85], v[82:83]
	v_fma_f64 v[84:85], v[198:199], s[6:7], -v[160:161]
	v_mul_f64 v[160:161], v[203:204], s[54:55]
	v_fma_f64 v[170:171], v[217:218], s[28:29], v[168:169]
	v_fma_f64 v[70:71], v[239:240], s[34:35], v[154:155]
	v_add_f64 v[82:83], v[84:85], v[82:83]
	v_fma_f64 v[84:85], v[217:218], s[28:29], -v[168:169]
	v_add_f64 v[170:171], v[170:171], v[78:79]
	v_fma_f64 v[78:79], v[249:250], s[44:45], v[172:173]
	v_fma_f64 v[168:169], v[126:127], s[6:7], v[166:167]
	v_add_f64 v[68:69], v[70:71], v[68:69]
	v_fma_f64 v[70:71], v[245:246], s[46:47], v[158:159]
	v_add_f64 v[84:85], v[84:85], v[82:83]
	;; [unrolled: 2-line block ×3, first 2 shown]
	v_fma_f64 v[76:77], v[229:230], s[16:17], v[174:175]
	v_mul_f64 v[78:79], v[136:137], s[46:47]
	v_add_f64 v[68:69], v[70:71], v[68:69]
	v_fma_f64 v[70:71], v[94:95], s[30:31], -v[160:161]
	v_add_f64 v[82:83], v[82:83], v[80:81]
	v_add_f64 v[80:81], v[86:87], v[84:85]
	v_fma_f64 v[84:85], v[130:131], s[42:43], v[140:141]
	v_fma_f64 v[86:87], v[156:157], s[24:25], v[142:143]
	v_add_f64 v[0:1], v[76:77], v[170:171]
	buffer_store_dword v0, off, s[64:67], 0 offset:256 ; 4-byte Folded Spill
	s_nop 0
	buffer_store_dword v1, off, s[64:67], 0 offset:260 ; 4-byte Folded Spill
	buffer_store_dword v2, off, s[64:67], 0 offset:264 ; 4-byte Folded Spill
	;; [unrolled: 1-line block ×3, first 2 shown]
	v_add_f64 v[84:85], v[10:11], v[84:85]
	v_mov_b32_e32 v0, v180
	v_mov_b32_e32 v1, v181
	v_mul_f64 v[180:181], v[231:232], s[28:29]
	v_mov_b32_e32 v2, v182
	v_mov_b32_e32 v3, v183
	v_mul_f64 v[182:183], v[138:139], s[40:41]
	v_add_f64 v[70:71], v[8:9], v[70:71]
	v_add_f64 v[84:85], v[86:87], v[84:85]
	v_fma_f64 v[86:87], v[186:187], s[58:59], v[148:149]
	v_mul_f64 v[140:141], v[146:147], s[4:5]
	v_mul_f64 v[142:143], v[164:165], s[30:31]
	;; [unrolled: 1-line block ×3, first 2 shown]
	v_add_f64 v[84:85], v[86:87], v[84:85]
	v_fma_f64 v[86:87], v[207:208], s[26:27], v[150:151]
	v_mul_f64 v[150:151], v[201:202], s[10:11]
	v_add_f64 v[84:85], v[86:87], v[84:85]
	v_fma_f64 v[86:87], v[223:224], s[52:53], v[152:153]
	v_mul_f64 v[152:153], v[221:222], s[22:23]
	v_add_f64 v[84:85], v[86:87], v[84:85]
	v_fma_f64 v[86:87], v[239:240], s[48:49], v[154:155]
	v_mul_f64 v[154:155], v[203:204], s[26:27]
	v_add_f64 v[84:85], v[86:87], v[84:85]
	v_fma_f64 v[86:87], v[245:246], s[38:39], v[158:159]
	v_mul_f64 v[158:159], v[233:234], s[50:51]
	v_add_f64 v[84:85], v[86:87], v[84:85]
	v_fma_f64 v[86:87], v[94:95], s[30:31], v[160:161]
	v_fma_f64 v[160:161], v[126:127], s[28:29], v[158:159]
	v_add_f64 v[86:87], v[8:9], v[86:87]
	v_add_f64 v[86:87], v[168:169], v[86:87]
	v_mul_f64 v[168:169], v[243:244], s[44:45]
	v_fma_f64 v[170:171], v[144:145], s[16:17], v[168:169]
	v_add_f64 v[86:87], v[170:171], v[86:87]
	v_mul_f64 v[170:171], v[247:248], s[60:61]
	v_fma_f64 v[172:173], v[162:163], s[18:19], v[170:171]
	;; [unrolled: 3-line block ×4, first 2 shown]
	v_add_f64 v[76:77], v[76:77], v[86:87]
	v_fma_f64 v[86:87], v[217:218], s[10:11], v[78:79]
	v_add_f64 v[76:77], v[86:87], v[76:77]
	v_fma_f64 v[86:87], v[249:250], s[50:51], v[180:181]
	;; [unrolled: 2-line block ×3, first 2 shown]
	v_add_f64 v[84:85], v[84:85], v[76:77]
	v_fma_f64 v[76:77], v[126:127], s[6:7], -v[166:167]
	v_add_f64 v[70:71], v[76:77], v[70:71]
	v_fma_f64 v[76:77], v[144:145], s[16:17], -v[168:169]
	;; [unrolled: 2-line block ×6, first 2 shown]
	v_fma_f64 v[78:79], v[229:230], s[28:29], -v[182:183]
	v_mul_f64 v[182:183], v[138:139], s[56:57]
	v_mul_f64 v[138:139], v[138:139], s[26:27]
	v_add_f64 v[76:77], v[76:77], v[70:71]
	v_fma_f64 v[70:71], v[249:250], s[40:41], v[180:181]
	v_mul_f64 v[180:181], v[231:232], s[6:7]
	v_add_f64 v[70:71], v[70:71], v[68:69]
	v_add_f64 v[68:69], v[78:79], v[76:77]
	v_mul_f64 v[76:77], v[96:97], s[18:19]
	v_mul_f64 v[78:79], v[128:129], s[28:29]
	v_fma_f64 v[64:65], v[130:131], s[60:61], v[76:77]
	v_fma_f64 v[66:67], v[156:157], s[40:41], v[78:79]
	;; [unrolled: 1-line block ×4, first 2 shown]
	v_fma_f64 v[76:77], v[126:127], s[28:29], -v[158:159]
	v_fma_f64 v[78:79], v[229:230], s[6:7], -v[182:183]
	v_mul_f64 v[158:159], v[233:234], s[42:43]
	v_add_f64 v[64:65], v[10:11], v[64:65]
	v_add_f64 v[60:61], v[10:11], v[60:61]
	;; [unrolled: 1-line block ×3, first 2 shown]
	v_fma_f64 v[66:67], v[186:187], s[52:53], v[140:141]
	v_add_f64 v[60:61], v[62:63], v[60:61]
	v_fma_f64 v[62:63], v[186:187], s[20:21], v[140:141]
	v_mul_f64 v[140:141], v[146:147], s[10:11]
	v_add_f64 v[64:65], v[66:67], v[64:65]
	v_fma_f64 v[66:67], v[207:208], s[42:43], v[142:143]
	v_add_f64 v[60:61], v[62:63], v[60:61]
	v_fma_f64 v[62:63], v[207:208], s[54:55], v[142:143]
	v_mul_f64 v[142:143], v[164:165], s[6:7]
	v_fma_f64 v[74:75], v[186:187], s[46:47], v[140:141]
	v_add_f64 v[64:65], v[66:67], v[64:65]
	v_fma_f64 v[66:67], v[223:224], s[44:45], v[148:149]
	v_add_f64 v[60:61], v[62:63], v[60:61]
	v_fma_f64 v[62:63], v[223:224], s[58:59], v[148:149]
	v_mul_f64 v[148:149], v[178:179], s[22:23]
	v_add_f64 v[64:65], v[66:67], v[64:65]
	v_fma_f64 v[66:67], v[239:240], s[46:47], v[150:151]
	v_add_f64 v[60:61], v[62:63], v[60:61]
	v_fma_f64 v[62:63], v[239:240], s[38:39], v[150:151]
	v_mul_f64 v[150:151], v[201:202], s[16:17]
	;; [unrolled: 5-line block ×3, first 2 shown]
	v_add_f64 v[64:65], v[66:67], v[64:65]
	v_fma_f64 v[66:67], v[94:95], s[18:19], v[154:155]
	v_add_f64 v[60:61], v[62:63], v[60:61]
	v_fma_f64 v[62:63], v[94:95], s[18:19], -v[154:155]
	v_mul_f64 v[154:155], v[203:204], s[40:41]
	v_add_f64 v[66:67], v[8:9], v[66:67]
	v_add_f64 v[62:63], v[8:9], v[62:63]
	;; [unrolled: 1-line block ×3, first 2 shown]
	v_mul_f64 v[160:161], v[243:244], s[20:21]
	v_add_f64 v[62:63], v[76:77], v[62:63]
	v_fma_f64 v[166:167], v[144:145], s[4:5], v[160:161]
	v_fma_f64 v[76:77], v[144:145], s[4:5], -v[160:161]
	v_fma_f64 v[160:161], v[126:127], s[30:31], v[158:159]
	v_add_f64 v[66:67], v[166:167], v[66:67]
	v_mul_f64 v[166:167], v[247:248], s[54:55]
	v_add_f64 v[62:63], v[76:77], v[62:63]
	v_fma_f64 v[168:169], v[162:163], s[30:31], v[166:167]
	v_fma_f64 v[76:77], v[162:163], s[30:31], -v[166:167]
	v_add_f64 v[66:67], v[168:169], v[66:67]
	v_mul_f64 v[168:169], v[253:254], s[58:59]
	v_add_f64 v[62:63], v[76:77], v[62:63]
	v_fma_f64 v[170:171], v[176:177], s[16:17], v[168:169]
	v_fma_f64 v[76:77], v[176:177], s[16:17], -v[168:169]
	v_add_f64 v[66:67], v[170:171], v[66:67]
	v_mul_f64 v[170:171], v[132:133], s[38:39]
	v_add_f64 v[62:63], v[76:77], v[62:63]
	v_mul_f64 v[132:133], v[132:133], s[58:59]
	v_fma_f64 v[172:173], v[198:199], s[10:11], v[170:171]
	v_fma_f64 v[76:77], v[198:199], s[10:11], -v[170:171]
	v_add_f64 v[66:67], v[172:173], v[66:67]
	v_mul_f64 v[172:173], v[136:137], s[34:35]
	v_add_f64 v[62:63], v[76:77], v[62:63]
	v_mul_f64 v[136:137], v[136:137], s[20:21]
	v_fma_f64 v[76:77], v[217:218], s[22:23], -v[172:173]
	v_fma_f64 v[174:175], v[217:218], s[22:23], v[172:173]
	v_mul_f64 v[172:173], v[231:232], s[18:19]
	v_add_f64 v[76:77], v[76:77], v[62:63]
	v_fma_f64 v[62:63], v[249:250], s[56:57], v[180:181]
	v_add_f64 v[174:175], v[174:175], v[66:67]
	v_fma_f64 v[66:67], v[249:250], s[24:25], v[180:181]
	v_add_f64 v[62:63], v[62:63], v[60:61]
	v_add_f64 v[60:61], v[78:79], v[76:77]
	v_mul_f64 v[76:77], v[96:97], s[28:29]
	v_mul_f64 v[78:79], v[128:129], s[30:31]
	v_add_f64 v[66:67], v[66:67], v[64:65]
	v_fma_f64 v[64:65], v[229:230], s[6:7], v[182:183]
	v_fma_f64 v[56:57], v[130:131], s[50:51], v[76:77]
	;; [unrolled: 1-line block ×5, first 2 shown]
	v_fma_f64 v[78:79], v[126:127], s[30:31], -v[158:159]
	v_mul_f64 v[158:159], v[198:199], s[28:29]
	v_mul_f64 v[156:157], v[176:177], s[10:11]
	v_add_f64 v[64:65], v[64:65], v[174:175]
	v_add_f64 v[56:57], v[10:11], v[56:57]
	v_mul_f64 v[174:175], v[231:232], s[4:5]
	v_add_f64 v[52:53], v[10:11], v[52:53]
	v_add_f64 v[156:157], v[156:157], -v[190:191]
	v_add_f64 v[56:57], v[58:59], v[56:57]
	v_fma_f64 v[58:59], v[186:187], s[38:39], v[140:141]
	v_add_f64 v[52:53], v[76:77], v[52:53]
	v_fma_f64 v[76:77], v[207:208], s[24:25], v[142:143]
	v_mul_f64 v[140:141], v[146:147], s[18:19]
	v_add_f64 v[56:57], v[58:59], v[56:57]
	v_fma_f64 v[58:59], v[207:208], s[56:57], v[142:143]
	v_add_f64 v[52:53], v[74:75], v[52:53]
	v_fma_f64 v[74:75], v[223:224], s[34:35], v[148:149]
	v_mul_f64 v[142:143], v[162:163], s[16:17]
	;; [unrolled: 5-line block ×4, first 2 shown]
	v_add_f64 v[56:57], v[58:59], v[56:57]
	v_fma_f64 v[58:59], v[245:246], s[52:53], v[152:153]
	v_add_f64 v[52:53], v[76:77], v[52:53]
	v_mul_f64 v[152:153], v[176:177], s[30:31]
	v_fma_f64 v[76:77], v[249:250], s[26:27], v[172:173]
	v_add_f64 v[56:57], v[58:59], v[56:57]
	v_fma_f64 v[58:59], v[94:95], s[28:29], v[154:155]
	v_add_f64 v[52:53], v[74:75], v[52:53]
	v_fma_f64 v[74:75], v[94:95], s[28:29], -v[154:155]
	v_mul_f64 v[154:155], v[178:179], s[30:31]
	v_add_f64 v[58:59], v[8:9], v[58:59]
	v_add_f64 v[52:53], v[76:77], v[52:53]
	;; [unrolled: 1-line block ×4, first 2 shown]
	v_mul_f64 v[160:161], v[243:244], s[46:47]
	v_add_f64 v[74:75], v[78:79], v[74:75]
	v_fma_f64 v[166:167], v[144:145], s[10:11], v[160:161]
	v_fma_f64 v[78:79], v[144:145], s[10:11], -v[160:161]
	v_mul_f64 v[160:161], v[201:202], s[28:29]
	v_add_f64 v[58:59], v[166:167], v[58:59]
	v_mul_f64 v[166:167], v[247:248], s[24:25]
	v_add_f64 v[74:75], v[78:79], v[74:75]
	v_add_f64 v[160:161], v[196:197], v[160:161]
	v_fma_f64 v[168:169], v[162:163], s[6:7], v[166:167]
	v_fma_f64 v[78:79], v[162:163], s[6:7], -v[166:167]
	v_mul_f64 v[166:167], v[221:222], s[6:7]
	v_add_f64 v[58:59], v[168:169], v[58:59]
	v_mul_f64 v[168:169], v[253:254], s[34:35]
	v_add_f64 v[74:75], v[78:79], v[74:75]
	v_fma_f64 v[78:79], v[176:177], s[22:23], -v[168:169]
	v_fma_f64 v[170:171], v[176:177], s[22:23], v[168:169]
	v_mul_f64 v[168:169], v[217:218], s[16:17]
	v_add_f64 v[74:75], v[78:79], v[74:75]
	v_fma_f64 v[78:79], v[198:199], s[16:17], -v[132:133]
	v_add_f64 v[58:59], v[170:171], v[58:59]
	v_fma_f64 v[170:171], v[198:199], s[16:17], v[132:133]
	v_add_f64 v[72:73], v[168:169], -v[215:216]
	v_add_f64 v[74:75], v[78:79], v[74:75]
	v_fma_f64 v[78:79], v[217:218], s[4:5], -v[136:137]
	v_add_f64 v[58:59], v[170:171], v[58:59]
	v_fma_f64 v[170:171], v[217:218], s[4:5], v[136:137]
	v_mul_f64 v[136:137], v[144:145], s[18:19]
	v_add_f64 v[78:79], v[78:79], v[74:75]
	v_mul_f64 v[74:75], v[146:147], s[28:29]
	v_add_f64 v[170:171], v[170:171], v[58:59]
	v_fma_f64 v[58:59], v[249:250], s[60:61], v[172:173]
	v_mul_f64 v[172:173], v[229:230], s[4:5]
	v_add_f64 v[74:75], v[118:119], v[74:75]
	v_mul_f64 v[118:119], v[96:97], s[16:17]
	v_add_f64 v[58:59], v[58:59], v[56:57]
	v_fma_f64 v[56:57], v[229:230], s[18:19], v[138:139]
	v_add_f64 v[28:29], v[172:173], -v[213:214]
	v_fma_f64 v[138:139], v[229:230], s[18:19], -v[138:139]
	v_add_f64 v[88:89], v[88:89], v[118:119]
	v_mul_f64 v[118:119], v[128:129], s[22:23]
	v_add_f64 v[56:57], v[56:57], v[170:171]
	v_mul_f64 v[170:171], v[229:230], s[22:23]
	v_add_f64 v[88:89], v[10:11], v[88:89]
	v_add_f64 v[114:115], v[114:115], v[118:119]
	v_mul_f64 v[118:119], v[178:179], s[10:11]
	v_add_f64 v[88:89], v[114:115], v[88:89]
	v_mul_f64 v[114:115], v[164:165], s[4:5]
	v_add_f64 v[118:119], v[211:212], v[118:119]
	v_add_f64 v[74:75], v[74:75], v[88:89]
	;; [unrolled: 1-line block ×3, first 2 shown]
	buffer_load_dword v116, off, s[64:67], 0 offset:56 ; 4-byte Folded Reload
	buffer_load_dword v117, off, s[64:67], 0 offset:60 ; 4-byte Folded Reload
	v_mul_f64 v[88:89], v[178:179], s[6:7]
	v_add_f64 v[74:75], v[114:115], v[74:75]
	v_mul_f64 v[114:115], v[201:202], s[30:31]
	v_add_f64 v[88:89], v[120:121], v[88:89]
	;; [unrolled: 2-line block ×3, first 2 shown]
	v_add_f64 v[74:75], v[88:89], v[74:75]
	v_mul_f64 v[88:89], v[221:222], s[18:19]
	v_mul_f64 v[122:123], v[126:127], s[10:11]
	v_add_f64 v[120:121], v[225:226], v[120:121]
	v_add_f64 v[74:75], v[114:115], v[74:75]
	;; [unrolled: 1-line block ×3, first 2 shown]
	v_mul_f64 v[114:115], v[231:232], s[10:11]
	v_mul_f64 v[124:125], v[128:129], s[10:11]
	v_add_f64 v[74:75], v[88:89], v[74:75]
	v_mul_f64 v[88:89], v[144:145], s[28:29]
	v_add_f64 v[114:115], v[134:135], v[114:115]
	v_add_f64 v[88:89], v[88:89], -v[98:99]
	v_mul_f64 v[98:99], v[94:95], s[16:17]
	v_add_f64 v[74:75], v[114:115], v[74:75]
	s_waitcnt vmcnt(0)
	v_add_f64 v[98:99], v[98:99], -v[116:117]
	v_mul_f64 v[116:117], v[126:127], s[22:23]
	v_add_f64 v[98:99], v[8:9], v[98:99]
	v_add_f64 v[116:117], v[116:117], -v[251:252]
	v_add_f64 v[98:99], v[116:117], v[98:99]
	v_mul_f64 v[116:117], v[162:163], s[4:5]
	v_add_f64 v[88:89], v[88:89], v[98:99]
	v_mul_f64 v[98:99], v[176:177], s[6:7]
	v_add_f64 v[90:91], v[116:117], -v[90:91]
	v_mul_f64 v[176:177], v[229:230], s[30:31]
	v_add_f64 v[98:99], v[98:99], -v[102:103]
	buffer_load_dword v102, off, s[64:67], 0 offset:400 ; 4-byte Folded Reload
	buffer_load_dword v103, off, s[64:67], 0 offset:404 ; 4-byte Folded Reload
	;; [unrolled: 1-line block ×4, first 2 shown]
	v_add_f64 v[88:89], v[90:91], v[88:89]
	v_mul_f64 v[90:91], v[96:97], s[6:7]
	v_add_f64 v[54:55], v[176:177], -v[235:236]
	v_add_f64 v[88:89], v[98:99], v[88:89]
	v_mul_f64 v[98:99], v[146:147], s[22:23]
	s_waitcnt vmcnt(2)
	v_add_f64 v[90:91], v[102:103], v[90:91]
	v_mul_f64 v[102:103], v[198:199], s[30:31]
	v_add_f64 v[90:91], v[10:11], v[90:91]
	v_add_f64 v[102:103], v[102:103], -v[112:113]
	v_mul_f64 v[112:113], v[128:129], s[18:19]
	v_mul_f64 v[128:129], v[128:129], s[16:17]
	v_add_f64 v[88:89], v[102:103], v[88:89]
	s_waitcnt vmcnt(0)
	v_add_f64 v[112:113], v[116:117], v[112:113]
	buffer_load_dword v116, off, s[64:67], 0 offset:184 ; 4-byte Folded Reload
	buffer_load_dword v117, off, s[64:67], 0 offset:188 ; 4-byte Folded Reload
	;; [unrolled: 1-line block ×8, first 2 shown]
	v_mul_f64 v[102:103], v[96:97], s[4:5]
	v_mul_f64 v[96:97], v[96:97], s[10:11]
	v_add_f64 v[90:91], v[112:113], v[90:91]
	v_mul_f64 v[112:113], v[164:165], s[28:29]
	v_add_f64 v[112:113], v[188:189], v[112:113]
	s_waitcnt vmcnt(6)
	v_add_f64 v[98:99], v[116:117], v[98:99]
	v_mul_f64 v[116:117], v[217:218], s[18:19]
	s_waitcnt vmcnt(0)
	v_add_f64 v[96:97], v[134:135], v[96:97]
	v_mul_f64 v[134:135], v[146:147], s[6:7]
	v_mul_f64 v[146:147], v[162:163], s[22:23]
	v_add_f64 v[90:91], v[98:99], v[90:91]
	v_mul_f64 v[98:99], v[94:95], s[4:5]
	v_add_f64 v[100:101], v[116:117], -v[100:101]
	v_add_f64 v[96:97], v[10:11], v[96:97]
	v_mul_f64 v[116:117], v[229:230], s[10:11]
	v_add_f64 v[90:91], v[112:113], v[90:91]
	v_mul_f64 v[112:113], v[94:95], s[10:11]
	v_mul_f64 v[94:95], v[94:95], s[6:7]
	v_add_f64 v[88:89], v[100:101], v[88:89]
	v_mul_f64 v[100:101], v[162:163], s[28:29]
	v_add_f64 v[92:93], v[116:117], -v[92:93]
	v_mul_f64 v[116:117], v[221:222], s[16:17]
	v_mul_f64 v[162:163], v[198:199], s[4:5]
	v_add_f64 v[90:91], v[118:119], v[90:91]
	v_mul_f64 v[118:119], v[126:127], s[16:17]
	v_mul_f64 v[126:127], v[126:127], s[18:19]
	v_add_f64 v[94:95], v[94:95], -v[132:133]
	v_mul_f64 v[132:133], v[144:145], s[22:23]
	v_add_f64 v[100:101], v[100:101], -v[130:131]
	v_mul_f64 v[130:131], v[144:145], s[6:7]
	v_mul_f64 v[144:145], v[164:165], s[16:17]
	;; [unrolled: 1-line block ×3, first 2 shown]
	v_add_f64 v[116:117], v[241:242], v[116:117]
	v_add_f64 v[126:127], v[126:127], -v[0:1]
	buffer_load_dword v0, off, s[64:67], 0 offset:104 ; 4-byte Folded Reload
	buffer_load_dword v1, off, s[64:67], 0 offset:108 ; 4-byte Folded Reload
	v_add_f64 v[94:95], v[8:9], v[94:95]
	v_add_f64 v[90:91], v[120:121], v[90:91]
	v_add_f64 v[114:115], v[162:163], -v[194:195]
	v_mul_f64 v[120:121], v[231:232], s[30:31]
	v_add_f64 v[94:95], v[126:127], v[94:95]
	v_mul_f64 v[126:127], v[178:179], s[28:29]
	v_add_f64 v[90:91], v[116:117], v[90:91]
	v_add_f64 v[116:117], v[219:220], v[166:167]
	;; [unrolled: 1-line block ×3, first 2 shown]
	s_waitcnt vmcnt(0)
	v_add_f64 v[132:133], v[132:133], -v[0:1]
	buffer_load_dword v0, off, s[64:67], 0 offset:384 ; 4-byte Folded Reload
	buffer_load_dword v1, off, s[64:67], 0 offset:388 ; 4-byte Folded Reload
	v_add_f64 v[94:95], v[132:133], v[94:95]
	v_mul_f64 v[132:133], v[201:202], s[18:19]
	v_add_f64 v[94:95], v[100:101], v[94:95]
	v_mul_f64 v[100:101], v[217:218], s[6:7]
	v_add_f64 v[94:95], v[156:157], v[94:95]
	v_add_f64 v[94:95], v[114:115], v[94:95]
	;; [unrolled: 1-line block ×3, first 2 shown]
	s_waitcnt vmcnt(0)
	v_add_f64 v[128:129], v[0:1], v[128:129]
	buffer_load_dword v0, off, s[64:67], 0 offset:72 ; 4-byte Folded Reload
	buffer_load_dword v1, off, s[64:67], 0 offset:76 ; 4-byte Folded Reload
	v_add_f64 v[96:97], v[128:129], v[96:97]
	v_mul_f64 v[128:129], v[198:199], s[18:19]
	s_waitcnt vmcnt(0)
	v_add_f64 v[140:141], v[0:1], v[140:141]
	buffer_load_dword v0, off, s[64:67], 0 offset:168 ; 4-byte Folded Reload
	buffer_load_dword v1, off, s[64:67], 0 offset:172 ; 4-byte Folded Reload
	v_add_f64 v[96:97], v[140:141], v[96:97]
	v_mul_f64 v[140:141], v[217:218], s[30:31]
	;; [unrolled: 6-line block ×3, first 2 shown]
	s_waitcnt vmcnt(0)
	v_add_f64 v[154:155], v[0:1], v[154:155]
	buffer_load_dword v0, off, s[64:67], 0 offset:320 ; 4-byte Folded Reload
	buffer_load_dword v1, off, s[64:67], 0 offset:324 ; 4-byte Folded Reload
	v_add_f64 v[96:97], v[154:155], v[96:97]
	v_add_f64 v[96:97], v[160:161], v[96:97]
	;; [unrolled: 1-line block ×4, first 2 shown]
	s_waitcnt vmcnt(0)
	v_add_f64 v[102:103], v[0:1], v[102:103]
	buffer_load_dword v0, off, s[64:67], 0 offset:272 ; 4-byte Folded Reload
	buffer_load_dword v1, off, s[64:67], 0 offset:276 ; 4-byte Folded Reload
	v_add_f64 v[10:11], v[10:11], v[102:103]
	s_waitcnt vmcnt(0)
	v_add_f64 v[16:17], v[98:99], -v[0:1]
	buffer_load_dword v0, off, s[64:67], 0 offset:304 ; 4-byte Folded Reload
	buffer_load_dword v1, off, s[64:67], 0 offset:308 ; 4-byte Folded Reload
	v_add_f64 v[16:17], v[8:9], v[16:17]
	s_waitcnt vmcnt(0)
	v_add_f64 v[18:19], v[112:113], -v[0:1]
	;; [unrolled: 5-line block ×3, first 2 shown]
	buffer_load_dword v0, off, s[64:67], 0 offset:328 ; 4-byte Folded Reload
	buffer_load_dword v1, off, s[64:67], 0 offset:332 ; 4-byte Folded Reload
	v_add_f64 v[8:9], v[98:99], v[8:9]
	s_waitcnt vmcnt(0)
	v_add_f64 v[112:113], v[0:1], v[124:125]
	buffer_load_dword v0, off, s[64:67], 0 offset:288 ; 4-byte Folded Reload
	buffer_load_dword v1, off, s[64:67], 0 offset:292 ; 4-byte Folded Reload
	v_add_f64 v[10:11], v[112:113], v[10:11]
	s_waitcnt vmcnt(0)
	v_add_f64 v[102:103], v[122:123], -v[0:1]
	buffer_load_dword v0, off, s[64:67], 0 offset:360 ; 4-byte Folded Reload
	buffer_load_dword v1, off, s[64:67], 0 offset:364 ; 4-byte Folded Reload
	v_add_f64 v[16:17], v[102:103], v[16:17]
	s_waitcnt vmcnt(0)
	v_add_f64 v[18:19], v[136:137], -v[0:1]
	buffer_load_dword v0, off, s[64:67], 0 offset:352 ; 4-byte Folded Reload
	buffer_load_dword v1, off, s[64:67], 0 offset:356 ; 4-byte Folded Reload
	v_add_f64 v[8:9], v[18:19], v[8:9]
	s_waitcnt vmcnt(0)
	v_add_f64 v[20:21], v[0:1], v[134:135]
	buffer_load_dword v0, off, s[64:67], 0 offset:336 ; 4-byte Folded Reload
	buffer_load_dword v1, off, s[64:67], 0 offset:340 ; 4-byte Folded Reload
	v_add_f64 v[10:11], v[20:21], v[10:11]
	v_add_f64 v[20:21], v[142:143], -v[2:3]
	s_waitcnt vmcnt(0)
	v_add_f64 v[22:23], v[130:131], -v[0:1]
	buffer_load_dword v0, off, s[64:67], 0 offset:40 ; 4-byte Folded Reload
	buffer_load_dword v1, off, s[64:67], 0 offset:44 ; 4-byte Folded Reload
	v_add_f64 v[16:17], v[22:23], v[16:17]
	v_add_f64 v[16:17], v[20:21], v[16:17]
	s_waitcnt vmcnt(0)
	v_add_f64 v[24:25], v[146:147], -v[0:1]
	buffer_load_dword v0, off, s[64:67], 0 offset:32 ; 4-byte Folded Reload
	buffer_load_dword v1, off, s[64:67], 0 offset:36 ; 4-byte Folded Reload
	v_add_f64 v[8:9], v[24:25], v[8:9]
	s_waitcnt vmcnt(0)
	v_add_f64 v[26:27], v[0:1], v[144:145]
	buffer_load_dword v0, off, s[64:67], 0 offset:152 ; 4-byte Folded Reload
	buffer_load_dword v1, off, s[64:67], 0 offset:156 ; 4-byte Folded Reload
	v_add_f64 v[10:11], v[26:27], v[10:11]
	s_waitcnt vmcnt(0)
	v_add_f64 v[18:19], v[152:153], -v[0:1]
	buffer_load_dword v0, off, s[64:67], 0 offset:136 ; 4-byte Folded Reload
	buffer_load_dword v1, off, s[64:67], 0 offset:140 ; 4-byte Folded Reload
	v_add_f64 v[8:9], v[18:19], v[8:9]
	v_add_f64 v[18:19], v[100:101], -v[192:193]
	s_waitcnt vmcnt(0)
	v_add_f64 v[22:23], v[0:1], v[126:127]
	buffer_load_dword v0, off, s[64:67], 0 offset:120 ; 4-byte Folded Reload
	buffer_load_dword v1, off, s[64:67], 0 offset:124 ; 4-byte Folded Reload
	v_add_f64 v[10:11], v[22:23], v[10:11]
	s_waitcnt vmcnt(0)
	v_add_f64 v[26:27], v[150:151], -v[0:1]
	buffer_load_dword v0, off, s[64:67], 0 offset:224 ; 4-byte Folded Reload
	buffer_load_dword v1, off, s[64:67], 0 offset:228 ; 4-byte Folded Reload
	v_add_f64 v[16:17], v[26:27], v[16:17]
	v_add_f64 v[26:27], v[184:185], v[164:165]
	s_waitcnt vmcnt(0)
	v_add_f64 v[20:21], v[158:159], -v[0:1]
	buffer_load_dword v0, off, s[64:67], 0 offset:216 ; 4-byte Folded Reload
	buffer_load_dword v1, off, s[64:67], 0 offset:220 ; 4-byte Folded Reload
	v_add_f64 v[8:9], v[20:21], v[8:9]
	v_add_f64 v[20:21], v[209:210], v[148:149]
	;; [unrolled: 1-line block ×3, first 2 shown]
	s_waitcnt vmcnt(0)
	v_add_f64 v[24:25], v[0:1], v[132:133]
	buffer_load_dword v0, off, s[64:67], 0 offset:200 ; 4-byte Folded Reload
	buffer_load_dword v1, off, s[64:67], 0 offset:204 ; 4-byte Folded Reload
	v_add_f64 v[10:11], v[24:25], v[10:11]
	s_waitcnt vmcnt(0)
	v_add_f64 v[22:23], v[128:129], -v[0:1]
	buffer_load_dword v0, off, s[64:67], 0 offset:248 ; 4-byte Folded Reload
	buffer_load_dword v1, off, s[64:67], 0 offset:252 ; 4-byte Folded Reload
	v_add_f64 v[16:17], v[22:23], v[16:17]
	v_add_f64 v[22:23], v[26:27], v[10:11]
	v_add_f64 v[26:27], v[170:171], -v[205:206]
	v_add_f64 v[10:11], v[76:77], v[90:91]
	v_add_f64 v[18:19], v[20:21], v[22:23]
	;; [unrolled: 1-line block ×6, first 2 shown]
	s_waitcnt vmcnt(0)
	v_add_f64 v[24:25], v[140:141], -v[0:1]
	buffer_load_dword v1, off, s[64:67], 0  ; 4-byte Folded Reload
	v_mul_lo_u16_e32 v0, 17, v255
	v_add_f64 v[16:17], v[24:25], v[16:17]
	v_add_f64 v[24:25], v[72:73], v[94:95]
	;; [unrolled: 1-line block ×5, first 2 shown]
	s_waitcnt vmcnt(0)
	v_add_lshl_u32 v0, v1, v0, 4
	ds_write_b128 v0, v[20:23]
	ds_write_b128 v0, v[16:19] offset:16
	ds_write_b128 v0, v[12:15] offset:32
	;; [unrolled: 1-line block ×8, first 2 shown]
	buffer_load_dword v8, off, s[64:67], 0 offset:256 ; 4-byte Folded Reload
	buffer_load_dword v9, off, s[64:67], 0 offset:260 ; 4-byte Folded Reload
	;; [unrolled: 1-line block ×4, first 2 shown]
	s_waitcnt vmcnt(0)
	ds_write_b128 v0, v[8:11] offset:144
	ds_write_b128 v0, v[84:87] offset:160
	ds_write_b128 v0, v[64:67] offset:176
	ds_write_b128 v0, v[56:59] offset:192
	ds_write_b128 v0, v[108:111] offset:208
	ds_write_b128 v0, v[104:107] offset:224
	buffer_load_dword v8, off, s[64:67], 0 offset:8 ; 4-byte Folded Reload
	buffer_load_dword v9, off, s[64:67], 0 offset:12 ; 4-byte Folded Reload
	;; [unrolled: 1-line block ×4, first 2 shown]
	s_waitcnt vmcnt(0)
	ds_write_b128 v0, v[8:11] offset:240
	ds_write_b128 v0, v[4:7] offset:256
.LBB0_7:
	s_or_b64 exec, exec, s[36:37]
	s_load_dwordx4 s[4:7], s[2:3], 0x0
	s_movk_i32 s2, 0xf1
	v_mul_lo_u16_sdwa v0, v255, s2 dst_sel:DWORD dst_unused:UNUSED_PAD src0_sel:BYTE_0 src1_sel:DWORD
	v_lshrrev_b16_e32 v20, 12, v0
	v_mul_lo_u16_e32 v0, 17, v20
	v_sub_u16_e32 v21, v255, v0
	v_mov_b32_e32 v0, 12
	v_mul_u32_u24_sdwa v0, v21, v0 dst_sel:DWORD dst_unused:UNUSED_PAD src0_sel:BYTE_0 src1_sel:DWORD
	v_lshlrev_b32_e32 v0, 4, v0
	s_waitcnt lgkmcnt(0)
	s_barrier
	global_load_dwordx4 v[68:71], v0, s[8:9]
	global_load_dwordx4 v[64:67], v0, s[8:9] offset:16
	global_load_dwordx4 v[40:43], v0, s[8:9] offset:32
	;; [unrolled: 1-line block ×11, first 2 shown]
	buffer_load_dword v1, off, s[64:67], 0  ; 4-byte Folded Reload
	s_mov_b32 s23, 0xbfddbe06
	s_mov_b32 s22, 0x4267c47c
	;; [unrolled: 1-line block ×30, first 2 shown]
	v_mul_u32_u24_e32 v0, 0xdd, v20
	v_add_u32_sdwa v0, v0, v21 dst_sel:DWORD dst_unused:UNUSED_PAD src0_sel:DWORD src1_sel:BYTE_0
	s_waitcnt vmcnt(0)
	v_add_lshl_u32 v186, v1, v255, 4
	ds_read_b128 v[72:75], v186
	ds_read_b128 v[8:11], v186 offset:1360
	ds_read_b128 v[12:15], v186 offset:2720
	;; [unrolled: 1-line block ×12, first 2 shown]
	s_waitcnt lgkmcnt(11)
	v_mul_f64 v[22:23], v[10:11], v[70:71]
	s_waitcnt lgkmcnt(10)
	v_mul_f64 v[122:123], v[14:15], v[66:67]
	v_mul_f64 v[120:121], v[8:9], v[70:71]
	;; [unrolled: 1-line block ×3, first 2 shown]
	s_waitcnt lgkmcnt(7)
	v_mul_f64 v[134:135], v[82:83], v[62:63]
	v_mul_f64 v[136:137], v[80:81], v[62:63]
	s_waitcnt lgkmcnt(6)
	v_mul_f64 v[138:139], v[86:87], v[50:51]
	s_waitcnt lgkmcnt(4)
	v_mul_f64 v[146:147], v[94:95], v[54:55]
	v_fma_f64 v[8:9], v[8:9], v[68:69], -v[22:23]
	v_fma_f64 v[22:23], v[12:13], v[64:65], -v[122:123]
	buffer_store_dword v64, off, s[64:67], 0 offset:120 ; 4-byte Folded Spill
	s_nop 0
	buffer_store_dword v65, off, s[64:67], 0 offset:124 ; 4-byte Folded Spill
	buffer_store_dword v66, off, s[64:67], 0 offset:128 ; 4-byte Folded Spill
	;; [unrolled: 1-line block ×3, first 2 shown]
	s_waitcnt lgkmcnt(3)
	v_mul_f64 v[150:151], v[98:99], v[38:39]
	v_fma_f64 v[80:81], v[80:81], v[60:61], -v[134:135]
	buffer_store_dword v60, off, s[64:67], 0 offset:104 ; 4-byte Folded Spill
	s_nop 0
	buffer_store_dword v61, off, s[64:67], 0 offset:108 ; 4-byte Folded Spill
	buffer_store_dword v62, off, s[64:67], 0 offset:112 ; 4-byte Folded Spill
	;; [unrolled: 1-line block ×3, first 2 shown]
	s_waitcnt lgkmcnt(0)
	v_mul_f64 v[162:163], v[118:119], v[34:35]
	v_mul_f64 v[140:141], v[84:85], v[50:51]
	;; [unrolled: 1-line block ×5, first 2 shown]
	v_fma_f64 v[12:13], v[84:85], v[48:49], -v[138:139]
	v_fma_f64 v[84:85], v[92:93], v[52:53], -v[146:147]
	;; [unrolled: 1-line block ×3, first 2 shown]
	buffer_store_dword v36, off, s[64:67], 0 offset:88 ; 4-byte Folded Spill
	s_nop 0
	buffer_store_dword v37, off, s[64:67], 0 offset:92 ; 4-byte Folded Spill
	buffer_store_dword v38, off, s[64:67], 0 offset:96 ; 4-byte Folded Spill
	buffer_store_dword v39, off, s[64:67], 0 offset:100 ; 4-byte Folded Spill
	v_fma_f64 v[96:97], v[116:117], v[32:33], -v[162:163]
	buffer_store_dword v32, off, s[64:67], 0 offset:72 ; 4-byte Folded Spill
	s_nop 0
	buffer_store_dword v33, off, s[64:67], 0 offset:76 ; 4-byte Folded Spill
	buffer_store_dword v34, off, s[64:67], 0 offset:80 ; 4-byte Folded Spill
	;; [unrolled: 1-line block ×3, first 2 shown]
	v_mul_f64 v[154:155], v[102:103], v[30:31]
	v_mul_f64 v[156:157], v[100:101], v[30:31]
	v_mul_f64 v[158:159], v[114:115], v[26:27]
	v_mul_f64 v[128:129], v[16:17], v[42:43]
	v_mul_f64 v[144:145], v[88:89], v[58:59]
	v_fma_f64 v[10:11], v[10:11], v[68:69], v[120:121]
	v_mul_f64 v[160:161], v[112:113], v[26:27]
	v_mul_f64 v[126:127], v[18:19], v[42:43]
	v_fma_f64 v[100:101], v[100:101], v[28:29], -v[154:155]
	buffer_store_dword v28, off, s[64:67], 0 offset:56 ; 4-byte Folded Spill
	s_nop 0
	buffer_store_dword v29, off, s[64:67], 0 offset:60 ; 4-byte Folded Spill
	buffer_store_dword v30, off, s[64:67], 0 offset:64 ; 4-byte Folded Spill
	;; [unrolled: 1-line block ×3, first 2 shown]
	v_fma_f64 v[112:113], v[112:113], v[24:25], -v[158:159]
	buffer_store_dword v24, off, s[64:67], 0 offset:40 ; 4-byte Folded Spill
	s_nop 0
	buffer_store_dword v25, off, s[64:67], 0 offset:44 ; 4-byte Folded Spill
	buffer_store_dword v26, off, s[64:67], 0 offset:48 ; 4-byte Folded Spill
	;; [unrolled: 1-line block ×3, first 2 shown]
	v_mul_f64 v[142:143], v[90:91], v[58:59]
	v_mul_f64 v[132:133], v[76:77], v[46:47]
	;; [unrolled: 1-line block ×3, first 2 shown]
	v_fma_f64 v[122:123], v[16:17], v[40:41], -v[126:127]
	v_add_f64 v[116:117], v[8:9], v[96:97]
	v_add_lshl_u32 v187, v1, v0, 4
	v_add_f64 v[126:127], v[22:23], v[112:113]
	v_fma_f64 v[16:17], v[88:89], v[56:57], -v[142:143]
	v_add_f64 v[88:89], v[72:73], v[8:9]
	v_fma_f64 v[78:79], v[78:79], v[44:45], v[132:133]
	v_fma_f64 v[76:77], v[76:77], v[44:45], -v[130:131]
	v_add_f64 v[8:9], v[8:9], -v[96:97]
	s_waitcnt vmcnt(0)
	s_barrier
	v_add_f64 v[88:89], v[88:89], v[22:23]
	v_add_f64 v[22:23], v[22:23], -v[112:113]
	v_mul_f64 v[132:133], v[8:9], s[22:23]
	v_add_f64 v[88:89], v[88:89], v[122:123]
	v_add_f64 v[88:89], v[88:89], v[76:77]
	;; [unrolled: 1-line block ×4, first 2 shown]
	v_fma_f64 v[120:121], v[14:15], v[64:65], v[124:125]
	v_fma_f64 v[124:125], v[18:19], v[40:41], v[128:129]
	;; [unrolled: 1-line block ×3, first 2 shown]
	v_add_f64 v[90:91], v[74:75], v[10:11]
	v_fma_f64 v[82:83], v[82:83], v[60:61], v[136:137]
	v_fma_f64 v[14:15], v[86:87], v[48:49], v[140:141]
	;; [unrolled: 1-line block ×3, first 2 shown]
	v_add_f64 v[88:89], v[88:89], v[16:17]
	v_mul_f64 v[136:137], v[8:9], s[30:31]
	v_mul_f64 v[140:141], v[8:9], s[38:39]
	;; [unrolled: 1-line block ×3, first 2 shown]
	v_add_f64 v[90:91], v[90:91], v[120:121]
	v_fma_f64 v[94:95], v[98:99], v[36:37], v[152:153]
	v_mul_f64 v[148:149], v[8:9], s[26:27]
	v_fma_f64 v[98:99], v[118:119], v[32:33], v[164:165]
	v_add_f64 v[88:89], v[88:89], v[84:85]
	v_mul_f64 v[152:153], v[8:9], s[34:35]
	v_add_f64 v[90:91], v[90:91], v[124:125]
	v_add_f64 v[118:119], v[10:11], v[98:99]
	v_add_f64 v[10:11], v[10:11], -v[98:99]
	v_fma_f64 v[102:103], v[102:103], v[28:29], v[156:157]
	v_add_f64 v[88:89], v[88:89], v[92:93]
	v_fma_f64 v[114:115], v[114:115], v[24:25], v[160:161]
	v_add_f64 v[90:91], v[90:91], v[78:79]
	v_fma_f64 v[164:165], v[118:119], s[16:17], v[144:145]
	v_mul_f64 v[130:131], v[10:11], s[22:23]
	v_mul_f64 v[134:135], v[10:11], s[30:31]
	;; [unrolled: 1-line block ×4, first 2 shown]
	v_add_f64 v[90:91], v[90:91], v[82:83]
	v_mul_f64 v[146:147], v[10:11], s[26:27]
	v_mul_f64 v[150:151], v[10:11], s[34:35]
	v_fma_f64 v[10:11], v[118:119], s[18:19], v[132:133]
	v_fma_f64 v[8:9], v[116:117], s[18:19], -v[130:131]
	v_add_f64 v[128:129], v[120:121], v[114:115]
	v_add_f64 v[120:121], v[120:121], -v[114:115]
	v_fma_f64 v[162:163], v[116:117], s[16:17], -v[142:143]
	v_add_f64 v[90:91], v[90:91], v[14:15]
	v_fma_f64 v[132:133], v[118:119], s[18:19], -v[132:133]
	v_fma_f64 v[156:157], v[118:119], s[10:11], v[136:137]
	v_add_f64 v[172:173], v[74:75], v[10:11]
	v_add_f64 v[170:171], v[72:73], v[8:9]
	;; [unrolled: 1-line block ×3, first 2 shown]
	v_fma_f64 v[136:137], v[118:119], s[10:11], -v[136:137]
	v_fma_f64 v[160:161], v[118:119], s[2:3], v[140:141]
	v_add_f64 v[90:91], v[90:91], v[18:19]
	v_fma_f64 v[140:141], v[118:119], s[2:3], -v[140:141]
	v_fma_f64 v[144:145], v[118:119], s[16:17], -v[144:145]
	v_fma_f64 v[168:169], v[118:119], s[24:25], v[148:149]
	v_fma_f64 v[148:149], v[118:119], s[24:25], -v[148:149]
	v_add_f64 v[8:9], v[8:9], v[112:113]
	v_fma_f64 v[130:131], v[116:117], s[18:19], v[130:131]
	v_fma_f64 v[154:155], v[116:117], s[10:11], -v[134:135]
	v_add_f64 v[90:91], v[90:91], v[86:87]
	v_fma_f64 v[134:135], v[116:117], s[10:11], v[134:135]
	v_fma_f64 v[158:159], v[116:117], s[2:3], -v[138:139]
	v_fma_f64 v[138:139], v[116:117], s[2:3], v[138:139]
	v_fma_f64 v[142:143], v[116:117], s[16:17], v[142:143]
	v_fma_f64 v[166:167], v[116:117], s[24:25], -v[146:147]
	v_fma_f64 v[146:147], v[116:117], s[24:25], v[146:147]
	v_add_f64 v[112:113], v[72:73], v[162:163]
	v_add_f64 v[90:91], v[90:91], v[94:95]
	v_add_f64 v[8:9], v[8:9], v[96:97]
	v_mul_f64 v[96:97], v[120:121], s[30:31]
	v_fma_f64 v[162:163], v[116:117], s[28:29], -v[150:151]
	v_fma_f64 v[116:117], v[116:117], s[28:29], v[150:151]
	v_add_f64 v[132:133], v[74:75], v[132:133]
	v_add_f64 v[156:157], v[74:75], v[156:157]
	;; [unrolled: 1-line block ×9, first 2 shown]
	v_mul_f64 v[168:169], v[22:23], s[34:35]
	v_add_f64 v[130:131], v[72:73], v[130:131]
	v_add_f64 v[10:11], v[10:11], v[114:115]
	;; [unrolled: 1-line block ×3, first 2 shown]
	v_fma_f64 v[164:165], v[118:119], s[28:29], v[152:153]
	v_fma_f64 v[118:119], v[118:119], s[28:29], -v[152:153]
	v_add_f64 v[154:155], v[72:73], v[154:155]
	v_add_f64 v[88:89], v[72:73], v[134:135]
	;; [unrolled: 1-line block ×5, first 2 shown]
	v_mul_f64 v[98:99], v[22:23], s[30:31]
	v_add_f64 v[164:165], v[74:75], v[164:165]
	v_add_f64 v[74:75], v[74:75], v[118:119]
	v_mul_f64 v[118:119], v[22:23], s[20:21]
	v_add_f64 v[142:143], v[72:73], v[142:143]
	v_add_f64 v[158:159], v[72:73], v[166:167]
	;; [unrolled: 1-line block ×3, first 2 shown]
	v_fma_f64 v[150:151], v[126:127], s[10:11], -v[96:97]
	v_fma_f64 v[152:153], v[128:129], s[10:11], v[98:99]
	v_add_f64 v[162:163], v[72:73], v[162:163]
	v_add_f64 v[72:73], v[72:73], v[116:117]
	v_mul_f64 v[116:117], v[120:121], s[20:21]
	v_mul_f64 v[166:167], v[120:121], s[34:35]
	v_fma_f64 v[176:177], v[128:129], s[28:29], v[168:169]
	v_fma_f64 v[96:97], v[126:127], s[10:11], v[96:97]
	v_add_f64 v[150:151], v[150:151], v[170:171]
	v_add_f64 v[152:153], v[152:153], v[172:173]
	v_fma_f64 v[172:173], v[128:129], s[16:17], v[118:119]
	v_fma_f64 v[118:119], v[128:129], s[16:17], -v[118:119]
	v_fma_f64 v[170:171], v[126:127], s[16:17], -v[116:117]
	v_fma_f64 v[116:117], v[126:127], s[16:17], v[116:117]
	v_fma_f64 v[174:175], v[126:127], s[28:29], -v[166:167]
	v_fma_f64 v[98:99], v[128:129], s[10:11], -v[98:99]
	v_add_f64 v[96:97], v[96:97], v[130:131]
	s_mov_b32 s23, 0x3fddbe06
	v_add_f64 v[90:91], v[118:119], v[90:91]
	v_add_f64 v[118:119], v[176:177], v[136:137]
	v_mul_f64 v[136:137], v[22:23], s[40:41]
	v_add_f64 v[130:131], v[170:171], v[154:155]
	v_add_f64 v[88:89], v[116:117], v[88:89]
	;; [unrolled: 1-line block ×3, first 2 shown]
	v_mul_f64 v[134:135], v[120:121], s[40:41]
	v_mul_f64 v[154:155], v[120:121], s[36:37]
	v_add_f64 v[98:99], v[98:99], v[132:133]
	v_add_f64 v[132:133], v[172:173], v[156:157]
	v_fma_f64 v[172:173], v[128:129], s[24:25], v[136:137]
	v_fma_f64 v[136:137], v[128:129], s[24:25], -v[136:137]
	v_fma_f64 v[156:157], v[126:127], s[28:29], v[166:167]
	v_fma_f64 v[166:167], v[128:129], s[28:29], -v[168:169]
	v_fma_f64 v[170:171], v[126:127], s[24:25], -v[134:135]
	v_fma_f64 v[134:135], v[126:127], s[24:25], v[134:135]
	v_fma_f64 v[174:175], v[126:127], s[2:3], -v[154:155]
	v_mul_f64 v[168:169], v[22:23], s[36:37]
	v_mul_f64 v[120:121], v[120:121], s[22:23]
	v_add_f64 v[136:137], v[136:137], v[144:145]
	v_add_f64 v[144:145], v[124:125], -v[102:103]
	v_add_f64 v[138:139], v[156:157], v[138:139]
	v_mul_f64 v[22:23], v[22:23], s[22:23]
	v_add_f64 v[134:135], v[134:135], v[142:143]
	v_add_f64 v[142:143], v[174:175], v[158:159]
	v_add_f64 v[158:159], v[122:123], -v[100:101]
	v_fma_f64 v[156:157], v[128:129], s[2:3], v[168:169]
	v_add_f64 v[100:101], v[122:123], v[100:101]
	v_mul_f64 v[122:123], v[144:145], s[38:39]
	v_add_f64 v[102:103], v[124:125], v[102:103]
	v_add_f64 v[140:141], v[166:167], v[140:141]
	v_fma_f64 v[154:155], v[126:127], s[2:3], v[154:155]
	v_fma_f64 v[166:167], v[126:127], s[18:19], -v[120:121]
	v_mul_f64 v[124:125], v[158:159], s[38:39]
	v_add_f64 v[156:157], v[156:157], v[160:161]
	v_fma_f64 v[160:161], v[128:129], s[2:3], -v[168:169]
	v_fma_f64 v[168:169], v[128:129], s[18:19], v[22:23]
	v_fma_f64 v[120:121], v[126:127], s[18:19], v[120:121]
	v_fma_f64 v[22:23], v[128:129], s[18:19], -v[22:23]
	v_fma_f64 v[126:127], v[100:101], s[2:3], -v[122:123]
	v_fma_f64 v[122:123], v[100:101], s[2:3], v[122:123]
	v_fma_f64 v[128:129], v[102:103], s[2:3], v[124:125]
	v_add_f64 v[146:147], v[154:155], v[146:147]
	v_add_f64 v[154:155], v[166:167], v[162:163]
	v_fma_f64 v[124:125], v[102:103], s[2:3], -v[124:125]
	v_add_f64 v[72:73], v[120:121], v[72:73]
	v_add_f64 v[22:23], v[22:23], v[74:75]
	;; [unrolled: 1-line block ×3, first 2 shown]
	v_mul_f64 v[126:127], v[144:145], s[34:35]
	v_mul_f64 v[150:151], v[144:145], s[42:43]
	v_add_f64 v[120:121], v[128:129], v[152:153]
	v_mul_f64 v[128:129], v[158:159], s[34:35]
	v_mul_f64 v[152:153], v[158:159], s[42:43]
	v_add_f64 v[96:97], v[122:123], v[96:97]
	v_add_f64 v[148:149], v[160:161], v[148:149]
	;; [unrolled: 1-line block ×3, first 2 shown]
	v_fma_f64 v[162:163], v[100:101], s[28:29], -v[126:127]
	v_fma_f64 v[126:127], v[100:101], s[28:29], v[126:127]
	v_fma_f64 v[122:123], v[100:101], s[16:17], -v[150:151]
	v_fma_f64 v[164:165], v[102:103], s[28:29], v[128:129]
	v_fma_f64 v[128:129], v[102:103], s[28:29], -v[128:129]
	v_add_f64 v[98:99], v[124:125], v[98:99]
	v_fma_f64 v[124:125], v[102:103], s[16:17], v[152:153]
	v_add_f64 v[112:113], v[170:171], v[112:113]
	v_add_f64 v[130:131], v[162:163], v[130:131]
	;; [unrolled: 1-line block ×3, first 2 shown]
	v_mul_f64 v[126:127], v[144:145], s[22:23]
	v_add_f64 v[116:117], v[122:123], v[116:117]
	v_fma_f64 v[122:123], v[100:101], s[16:17], v[150:151]
	v_mul_f64 v[150:151], v[144:145], s[30:31]
	v_add_f64 v[90:91], v[128:129], v[90:91]
	v_mul_f64 v[128:129], v[158:159], s[22:23]
	v_add_f64 v[118:119], v[124:125], v[118:119]
	v_fma_f64 v[124:125], v[102:103], s[16:17], -v[152:153]
	v_mul_f64 v[152:153], v[158:159], s[30:31]
	v_fma_f64 v[162:163], v[100:101], s[18:19], -v[126:127]
	v_fma_f64 v[126:127], v[100:101], s[18:19], v[126:127]
	v_add_f64 v[122:123], v[122:123], v[138:139]
	v_fma_f64 v[138:139], v[100:101], s[10:11], -v[150:151]
	v_add_f64 v[132:133], v[164:165], v[132:133]
	v_fma_f64 v[164:165], v[102:103], s[18:19], v[128:129]
	v_fma_f64 v[128:129], v[102:103], s[18:19], -v[128:129]
	v_add_f64 v[124:125], v[124:125], v[140:141]
	v_fma_f64 v[140:141], v[102:103], s[10:11], v[152:153]
	v_add_f64 v[126:127], v[126:127], v[134:135]
	v_mul_f64 v[134:135], v[144:145], s[26:27]
	v_add_f64 v[138:139], v[138:139], v[142:143]
	v_add_f64 v[142:143], v[78:79], -v[94:95]
	v_add_f64 v[144:145], v[76:77], -v[92:93]
	v_add_f64 v[128:129], v[128:129], v[136:137]
	v_mul_f64 v[136:137], v[158:159], s[26:27]
	v_add_f64 v[140:141], v[140:141], v[156:157]
	v_fma_f64 v[150:151], v[100:101], s[10:11], v[150:151]
	v_fma_f64 v[156:157], v[100:101], s[24:25], -v[134:135]
	v_add_f64 v[76:77], v[76:77], v[92:93]
	v_mul_f64 v[92:93], v[142:143], s[20:21]
	v_fma_f64 v[100:101], v[100:101], s[24:25], v[134:135]
	v_fma_f64 v[152:153], v[102:103], s[10:11], -v[152:153]
	v_fma_f64 v[158:159], v[102:103], s[24:25], v[136:137]
	v_add_f64 v[78:79], v[78:79], v[94:95]
	v_mul_f64 v[94:95], v[144:145], s[20:21]
	v_fma_f64 v[102:103], v[102:103], s[24:25], -v[136:137]
	v_add_f64 v[134:135], v[150:151], v[146:147]
	v_fma_f64 v[150:151], v[76:77], s[16:17], -v[92:93]
	v_add_f64 v[72:73], v[100:101], v[72:73]
	v_mul_f64 v[100:101], v[142:143], s[40:41]
	v_add_f64 v[136:137], v[152:153], v[148:149]
	v_add_f64 v[146:147], v[156:157], v[154:155]
	v_fma_f64 v[152:153], v[78:79], s[16:17], v[94:95]
	v_add_f64 v[22:23], v[102:103], v[22:23]
	v_mul_f64 v[102:103], v[144:145], s[40:41]
	v_fma_f64 v[92:93], v[76:77], s[16:17], v[92:93]
	v_add_f64 v[74:75], v[150:151], v[74:75]
	v_mul_f64 v[150:151], v[142:143], s[22:23]
	v_fma_f64 v[154:155], v[76:77], s[24:25], -v[100:101]
	v_fma_f64 v[94:95], v[78:79], s[16:17], -v[94:95]
	v_add_f64 v[120:121], v[152:153], v[120:121]
	v_mul_f64 v[152:153], v[144:145], s[22:23]
	v_fma_f64 v[156:157], v[78:79], s[24:25], v[102:103]
	v_add_f64 v[92:93], v[92:93], v[96:97]
	v_fma_f64 v[96:97], v[76:77], s[24:25], v[100:101]
	v_fma_f64 v[100:101], v[76:77], s[18:19], -v[150:151]
	v_add_f64 v[130:131], v[154:155], v[130:131]
	v_mul_f64 v[154:155], v[142:143], s[38:39]
	v_add_f64 v[114:115], v[172:173], v[114:115]
	v_add_f64 v[94:95], v[94:95], v[98:99]
	v_fma_f64 v[98:99], v[78:79], s[24:25], -v[102:103]
	v_fma_f64 v[102:103], v[78:79], s[18:19], v[152:153]
	v_add_f64 v[132:133], v[156:157], v[132:133]
	v_mul_f64 v[156:157], v[144:145], s[38:39]
	s_mov_b32 s41, 0x3fcea1e5
	s_mov_b32 s40, s34
	v_add_f64 v[112:113], v[162:163], v[112:113]
	v_add_f64 v[88:89], v[96:97], v[88:89]
	;; [unrolled: 1-line block ×3, first 2 shown]
	v_fma_f64 v[100:101], v[76:77], s[18:19], v[150:151]
	v_fma_f64 v[116:117], v[76:77], s[2:3], -v[154:155]
	v_mul_f64 v[150:151], v[142:143], s[40:41]
	v_add_f64 v[114:115], v[164:165], v[114:115]
	v_add_f64 v[90:91], v[98:99], v[90:91]
	;; [unrolled: 1-line block ×3, first 2 shown]
	v_fma_f64 v[102:103], v[78:79], s[18:19], -v[152:153]
	v_fma_f64 v[118:119], v[78:79], s[2:3], v[156:157]
	v_mul_f64 v[152:153], v[144:145], s[40:41]
	v_fma_f64 v[154:155], v[76:77], s[2:3], v[154:155]
	v_add_f64 v[112:113], v[116:117], v[112:113]
	v_fma_f64 v[116:117], v[76:77], s[28:29], -v[150:151]
	v_fma_f64 v[156:157], v[78:79], s[2:3], -v[156:157]
	s_mov_b32 s39, 0x3fea55e2
	s_mov_b32 s38, s30
	v_add_f64 v[114:115], v[118:119], v[114:115]
	v_fma_f64 v[118:119], v[78:79], s[28:29], v[152:153]
	v_add_f64 v[100:101], v[100:101], v[122:123]
	v_add_f64 v[122:123], v[154:155], v[126:127]
	v_mul_f64 v[126:127], v[142:143], s[38:39]
	v_add_f64 v[116:117], v[116:117], v[138:139]
	v_add_f64 v[138:139], v[82:83], -v[86:87]
	v_add_f64 v[102:103], v[102:103], v[124:125]
	v_add_f64 v[124:125], v[156:157], v[128:129]
	v_mul_f64 v[128:129], v[144:145], s[38:39]
	v_add_f64 v[118:119], v[118:119], v[140:141]
	v_add_f64 v[140:141], v[80:81], -v[84:85]
	v_fma_f64 v[142:143], v[76:77], s[28:29], v[150:151]
	v_fma_f64 v[150:151], v[76:77], s[10:11], -v[126:127]
	v_add_f64 v[80:81], v[80:81], v[84:85]
	v_mul_f64 v[84:85], v[138:139], s[26:27]
	v_fma_f64 v[76:77], v[76:77], s[10:11], v[126:127]
	v_fma_f64 v[144:145], v[78:79], s[28:29], -v[152:153]
	v_fma_f64 v[152:153], v[78:79], s[10:11], v[128:129]
	v_add_f64 v[82:83], v[82:83], v[86:87]
	v_mul_f64 v[86:87], v[140:141], s[26:27]
	v_fma_f64 v[78:79], v[78:79], s[10:11], -v[128:129]
	v_add_f64 v[126:127], v[142:143], v[134:135]
	v_fma_f64 v[142:143], v[80:81], s[24:25], -v[84:85]
	v_add_f64 v[72:73], v[76:77], v[72:73]
	v_mul_f64 v[76:77], v[138:139], s[36:37]
	v_add_f64 v[148:149], v[158:159], v[160:161]
	v_add_f64 v[128:129], v[144:145], v[136:137]
	v_fma_f64 v[144:145], v[82:83], s[24:25], v[86:87]
	v_add_f64 v[22:23], v[78:79], v[22:23]
	v_mul_f64 v[78:79], v[140:141], s[36:37]
	v_add_f64 v[134:135], v[150:151], v[146:147]
	v_fma_f64 v[84:85], v[80:81], s[24:25], v[84:85]
	v_add_f64 v[74:75], v[142:143], v[74:75]
	v_mul_f64 v[142:143], v[138:139], s[30:31]
	v_fma_f64 v[146:147], v[80:81], s[2:3], -v[76:77]
	v_add_f64 v[136:137], v[152:153], v[148:149]
	v_fma_f64 v[86:87], v[82:83], s[24:25], -v[86:87]
	v_add_f64 v[120:121], v[144:145], v[120:121]
	v_mul_f64 v[144:145], v[140:141], s[30:31]
	v_fma_f64 v[148:149], v[82:83], s[2:3], v[78:79]
	v_add_f64 v[84:85], v[84:85], v[92:93]
	v_fma_f64 v[76:77], v[80:81], s[2:3], v[76:77]
	v_fma_f64 v[92:93], v[80:81], s[10:11], -v[142:143]
	v_add_f64 v[130:131], v[146:147], v[130:131]
	v_mul_f64 v[146:147], v[138:139], s[40:41]
	v_add_f64 v[86:87], v[86:87], v[94:95]
	v_fma_f64 v[78:79], v[82:83], s[2:3], -v[78:79]
	v_fma_f64 v[94:95], v[82:83], s[10:11], v[144:145]
	v_add_f64 v[132:133], v[148:149], v[132:133]
	v_mul_f64 v[148:149], v[140:141], s[40:41]
	v_add_f64 v[76:77], v[76:77], v[88:89]
	v_add_f64 v[88:89], v[92:93], v[96:97]
	v_fma_f64 v[92:93], v[80:81], s[10:11], v[142:143]
	v_fma_f64 v[96:97], v[80:81], s[28:29], -v[146:147]
	v_mul_f64 v[142:143], v[138:139], s[22:23]
	v_add_f64 v[78:79], v[78:79], v[90:91]
	v_add_f64 v[90:91], v[94:95], v[98:99]
	v_fma_f64 v[94:95], v[82:83], s[10:11], -v[144:145]
	v_fma_f64 v[98:99], v[82:83], s[28:29], v[148:149]
	v_mul_f64 v[144:145], v[140:141], s[22:23]
	v_fma_f64 v[148:149], v[82:83], s[28:29], -v[148:149]
	v_add_f64 v[92:93], v[92:93], v[100:101]
	v_add_f64 v[96:97], v[96:97], v[112:113]
	v_fma_f64 v[100:101], v[80:81], s[18:19], -v[142:143]
	v_fma_f64 v[112:113], v[80:81], s[18:19], v[142:143]
	v_mul_f64 v[138:139], v[138:139], s[20:21]
	v_add_f64 v[142:143], v[14:15], -v[18:19]
	v_add_f64 v[98:99], v[98:99], v[114:115]
	v_add_f64 v[124:125], v[148:149], v[124:125]
	v_fma_f64 v[114:115], v[82:83], s[18:19], -v[144:145]
	v_mul_f64 v[140:141], v[140:141], s[20:21]
	v_add_f64 v[148:149], v[12:13], -v[16:17]
	v_add_f64 v[126:127], v[112:113], v[126:127]
	v_fma_f64 v[112:113], v[80:81], s[16:17], -v[138:139]
	v_add_f64 v[150:151], v[12:13], v[16:17]
	v_mul_f64 v[12:13], v[142:143], s[34:35]
	v_fma_f64 v[146:147], v[80:81], s[28:29], v[146:147]
	v_add_f64 v[94:95], v[94:95], v[102:103]
	v_fma_f64 v[102:103], v[82:83], s[18:19], v[144:145]
	v_add_f64 v[128:129], v[114:115], v[128:129]
	;; [unrolled: 2-line block ×3, first 2 shown]
	v_mul_f64 v[14:15], v[148:149], s[34:35]
	v_fma_f64 v[16:17], v[80:81], s[16:17], v[138:139]
	v_fma_f64 v[18:19], v[82:83], s[16:17], -v[140:141]
	v_mul_f64 v[80:81], v[142:143], s[22:23]
	v_add_f64 v[134:135], v[112:113], v[134:135]
	v_fma_f64 v[112:113], v[150:151], s[28:29], -v[12:13]
	v_add_f64 v[102:103], v[102:103], v[118:119]
	v_add_f64 v[136:137], v[114:115], v[136:137]
	v_mul_f64 v[82:83], v[148:149], s[22:23]
	v_fma_f64 v[114:115], v[152:153], s[28:29], v[14:15]
	v_add_f64 v[138:139], v[16:17], v[72:73]
	v_add_f64 v[22:23], v[18:19], v[22:23]
	v_fma_f64 v[16:17], v[150:151], s[28:29], v[12:13]
	v_fma_f64 v[18:19], v[152:153], s[28:29], -v[14:15]
	v_fma_f64 v[72:73], v[150:151], s[18:19], -v[80:81]
	v_mul_f64 v[118:119], v[148:149], s[26:27]
	v_add_f64 v[12:13], v[112:113], v[74:75]
	v_mul_f64 v[74:75], v[142:143], s[26:27]
	v_add_f64 v[100:101], v[100:101], v[116:117]
	v_fma_f64 v[116:117], v[152:153], s[18:19], v[82:83]
	v_add_f64 v[14:15], v[114:115], v[120:121]
	v_add_f64 v[112:113], v[16:17], v[84:85]
	v_add_f64 v[114:115], v[18:19], v[86:87]
	v_add_f64 v[16:17], v[72:73], v[130:131]
	v_fma_f64 v[72:73], v[150:151], s[18:19], v[80:81]
	v_fma_f64 v[80:81], v[152:153], s[18:19], -v[82:83]
	v_fma_f64 v[84:85], v[152:153], s[24:25], v[118:119]
	v_mul_f64 v[86:87], v[142:143], s[38:39]
	v_fma_f64 v[82:83], v[150:151], s[24:25], -v[74:75]
	v_mul_f64 v[120:121], v[148:149], s[38:39]
	v_add_f64 v[18:19], v[116:117], v[132:133]
	v_fma_f64 v[130:131], v[150:151], s[24:25], v[74:75]
	v_fma_f64 v[132:133], v[152:153], s[24:25], -v[118:119]
	v_add_f64 v[116:117], v[72:73], v[76:77]
	v_add_f64 v[118:119], v[80:81], v[78:79]
	v_add_f64 v[74:75], v[84:85], v[90:91]
	v_fma_f64 v[76:77], v[150:151], s[10:11], -v[86:87]
	v_fma_f64 v[80:81], v[150:151], s[10:11], v[86:87]
	v_mul_f64 v[84:85], v[142:143], s[20:21]
	v_mul_f64 v[86:87], v[148:149], s[20:21]
	v_add_f64 v[122:123], v[146:147], v[122:123]
	v_add_f64 v[72:73], v[82:83], v[88:89]
	v_mul_f64 v[88:89], v[142:143], s[36:37]
	v_mul_f64 v[90:91], v[148:149], s[36:37]
	v_fma_f64 v[78:79], v[152:153], s[10:11], v[120:121]
	v_fma_f64 v[82:83], v[152:153], s[10:11], -v[120:121]
	v_add_f64 v[144:145], v[130:131], v[92:93]
	v_add_f64 v[146:147], v[132:133], v[94:95]
	v_fma_f64 v[92:93], v[150:151], s[16:17], -v[84:85]
	v_fma_f64 v[94:95], v[152:153], s[16:17], v[86:87]
	v_add_f64 v[80:81], v[80:81], v[122:123]
	v_fma_f64 v[120:121], v[150:151], s[2:3], -v[88:89]
	v_fma_f64 v[122:123], v[152:153], s[2:3], v[90:91]
	v_add_f64 v[76:77], v[76:77], v[96:97]
	v_add_f64 v[78:79], v[78:79], v[98:99]
	;; [unrolled: 1-line block ×3, first 2 shown]
	v_fma_f64 v[96:97], v[150:151], s[16:17], v[84:85]
	v_fma_f64 v[98:99], v[152:153], s[16:17], -v[86:87]
	v_fma_f64 v[124:125], v[150:151], s[2:3], v[88:89]
	v_fma_f64 v[130:131], v[152:153], s[2:3], -v[90:91]
	v_add_f64 v[84:85], v[92:93], v[100:101]
	v_add_f64 v[86:87], v[94:95], v[102:103]
	;; [unrolled: 1-line block ×8, first 2 shown]
	ds_write_b128 v187, v[8:11]
	ds_write_b128 v187, v[12:15] offset:272
	ds_write_b128 v187, v[16:19] offset:544
	ds_write_b128 v187, v[72:75] offset:816
	ds_write_b128 v187, v[76:79] offset:1088
	ds_write_b128 v187, v[84:87] offset:1360
	ds_write_b128 v187, v[92:95] offset:1632
	ds_write_b128 v187, v[96:99] offset:1904
	ds_write_b128 v187, v[88:91] offset:2176
	ds_write_b128 v187, v[80:83] offset:2448
	ds_write_b128 v187, v[144:147] offset:2720
	ds_write_b128 v187, v[116:119] offset:2992
	ds_write_b128 v187, v[112:115] offset:3264
	s_waitcnt lgkmcnt(0)
	s_barrier
	ds_read_b128 v[120:123], v186
	ds_read_b128 v[124:127], v186 offset:1360
	ds_read_b128 v[148:151], v186 offset:3536
	;; [unrolled: 1-line block ×9, first 2 shown]
	v_cmp_gt_u16_e64 s[2:3], 51, v255
	s_and_saveexec_b64 s[10:11], s[2:3]
	s_cbranch_execz .LBB0_9
; %bb.8:
	ds_read_b128 v[144:147], v186 offset:2720
	ds_read_b128 v[116:119], v186 offset:6256
	;; [unrolled: 1-line block ×5, first 2 shown]
.LBB0_9:
	s_or_b64 exec, exec, s[10:11]
	v_add_co_u32_e32 v1, vcc, 0xaa, v255
	v_lshlrev_b32_e32 v0, 6, v255
	v_addc_co_u32_e64 v2, s[10:11], 0, 0, vcc
	global_load_dwordx4 v[74:77], v0, s[8:9] offset:3312
	global_load_dwordx4 v[78:81], v0, s[8:9] offset:3296
	;; [unrolled: 1-line block ×4, first 2 shown]
	v_add_u32_e32 v0, 0x1540, v0
	s_movk_i32 s10, 0xffcd
	global_load_dwordx4 v[28:31], v0, s[8:9] offset:3312
	global_load_dwordx4 v[90:93], v0, s[8:9] offset:3296
	;; [unrolled: 1-line block ×4, first 2 shown]
	v_add_co_u32_e32 v0, vcc, s10, v255
	v_addc_co_u32_e64 v3, s[10:11], 0, -1, vcc
	v_cndmask_b32_e64 v9, v3, v2, s[2:3]
	v_cndmask_b32_e64 v8, v0, v1, s[2:3]
	v_lshlrev_b64 v[8:9], 6, v[8:9]
	v_mov_b32_e32 v0, s9
	v_add_co_u32_e32 v8, vcc, s8, v8
	v_addc_co_u32_e32 v9, vcc, v0, v9, vcc
	global_load_dwordx4 v[0:3], v[8:9], off offset:3264
	global_load_dwordx4 v[24:27], v[8:9], off offset:3280
	;; [unrolled: 1-line block ×4, first 2 shown]
	s_mov_b32 s16, 0x134454ff
	s_mov_b32 s17, 0x3fee6f0e
	;; [unrolled: 1-line block ×10, first 2 shown]
	s_waitcnt vmcnt(11) lgkmcnt(1)
	v_mul_f64 v[170:171], v[160:161], v[76:77]
	s_waitcnt vmcnt(10)
	v_mul_f64 v[164:165], v[158:159], v[80:81]
	s_waitcnt vmcnt(9)
	;; [unrolled: 2-line block ×3, first 2 shown]
	v_mul_f64 v[8:9], v[150:151], v[88:89]
	v_mul_f64 v[10:11], v[148:149], v[88:89]
	;; [unrolled: 1-line block ×3, first 2 shown]
	s_waitcnt vmcnt(5)
	v_mul_f64 v[176:177], v[134:135], v[96:97]
	s_waitcnt lgkmcnt(0)
	v_mul_f64 v[184:185], v[142:143], v[30:31]
	v_mul_f64 v[12:13], v[154:155], v[84:85]
	;; [unrolled: 1-line block ×5, first 2 shown]
	v_fma_f64 v[8:9], v[148:149], v[86:87], -v[8:9]
	v_fma_f64 v[10:11], v[150:151], v[86:87], v[10:11]
	v_fma_f64 v[14:15], v[154:155], v[82:83], v[14:15]
	v_fma_f64 v[148:149], v[156:157], v[78:79], -v[164:165]
	s_waitcnt vmcnt(3)
	v_mul_f64 v[190:191], v[118:119], v[2:3]
	s_waitcnt vmcnt(2)
	v_mul_f64 v[194:195], v[114:115], v[26:27]
	;; [unrolled: 2-line block ×4, first 2 shown]
	v_mul_f64 v[192:193], v[116:117], v[2:3]
	v_mul_f64 v[196:197], v[112:113], v[26:27]
	;; [unrolled: 1-line block ×4, first 2 shown]
	v_fma_f64 v[150:151], v[158:159], v[78:79], v[166:167]
	v_fma_f64 v[154:155], v[162:163], v[74:75], v[170:171]
	v_fma_f64 v[156:157], v[132:133], v[94:95], -v[176:177]
	v_fma_f64 v[132:133], v[140:141], v[28:29], -v[184:185]
	buffer_store_dword v28, off, s[64:67], 0 offset:136 ; 4-byte Folded Spill
	s_nop 0
	buffer_store_dword v29, off, s[64:67], 0 offset:140 ; 4-byte Folded Spill
	buffer_store_dword v30, off, s[64:67], 0 offset:144 ; 4-byte Folded Spill
	buffer_store_dword v31, off, s[64:67], 0 offset:148 ; 4-byte Folded Spill
	v_fma_f64 v[158:159], v[116:117], v[0:1], -v[190:191]
	buffer_store_dword v0, off, s[64:67], 0 offset:152 ; 4-byte Folded Spill
	s_nop 0
	buffer_store_dword v1, off, s[64:67], 0 offset:156 ; 4-byte Folded Spill
	buffer_store_dword v2, off, s[64:67], 0 offset:160 ; 4-byte Folded Spill
	buffer_store_dword v3, off, s[64:67], 0 offset:164 ; 4-byte Folded Spill
	;; [unrolled: 6-line block ×5, first 2 shown]
	v_mul_f64 v[172:173], v[130:131], v[100:101]
	v_fma_f64 v[12:13], v[152:153], v[82:83], -v[12:13]
	v_fma_f64 v[152:153], v[160:161], v[74:75], -v[168:169]
	v_mul_f64 v[174:175], v[128:129], v[100:101]
	v_add_f64 v[104:105], v[120:121], v[8:9]
	v_add_f64 v[108:109], v[10:11], -v[154:155]
	v_add_f64 v[176:177], v[14:15], v[150:151]
	v_fma_f64 v[134:135], v[134:135], v[94:95], v[178:179]
	v_fma_f64 v[128:129], v[128:129], v[98:99], -v[172:173]
	v_add_f64 v[112:113], v[8:9], -v[12:13]
	v_add_f64 v[116:117], v[8:9], v[152:153]
	v_fma_f64 v[130:131], v[130:131], v[98:99], v[174:175]
	v_add_f64 v[174:175], v[122:123], v[10:11]
	v_add_f64 v[140:141], v[148:149], -v[152:153]
	v_add_f64 v[178:179], v[12:13], -v[148:149]
	v_mul_f64 v[180:181], v[138:139], v[92:93]
	v_mul_f64 v[182:183], v[136:137], v[92:93]
	v_fma_f64 v[116:117], v[116:117], -0.5, v[120:121]
	v_fma_f64 v[136:137], v[136:137], v[90:91], -v[180:181]
	v_fma_f64 v[138:139], v[138:139], v[90:91], v[182:183]
	v_fma_f64 v[142:143], v[142:143], v[28:29], v[188:189]
	v_fma_f64 v[160:161], v[118:119], v[0:1], v[192:193]
	v_add_f64 v[118:119], v[12:13], -v[8:9]
	v_fma_f64 v[164:165], v[114:115], v[24:25], v[196:197]
	v_add_f64 v[114:115], v[152:153], -v[148:149]
	v_fma_f64 v[168:169], v[110:111], v[20:21], v[201:202]
	;; [unrolled: 2-line block ×3, first 2 shown]
	v_add_f64 v[106:107], v[12:13], v[148:149]
	v_add_f64 v[12:13], v[104:105], v[12:13]
	;; [unrolled: 1-line block ×3, first 2 shown]
	v_add_f64 v[8:9], v[8:9], -v[152:153]
	v_add_f64 v[112:113], v[112:113], v[114:115]
	v_fma_f64 v[114:115], v[176:177], -0.5, v[122:123]
	v_fma_f64 v[176:177], v[110:111], s[20:21], v[116:117]
	v_fma_f64 v[116:117], v[110:111], s[16:17], v[116:117]
	v_fma_f64 v[106:107], v[106:107], -0.5, v[120:121]
	v_add_f64 v[120:121], v[10:11], v[154:155]
	v_add_f64 v[118:119], v[118:119], v[140:141]
	;; [unrolled: 1-line block ×4, first 2 shown]
	v_fma_f64 v[148:149], v[8:9], s[20:21], v[114:115]
	v_fma_f64 v[176:177], v[108:109], s[8:9], v[176:177]
	;; [unrolled: 1-line block ×5, first 2 shown]
	v_fma_f64 v[122:123], v[120:121], -0.5, v[122:123]
	v_add_f64 v[104:105], v[12:13], v[152:153]
	v_fma_f64 v[114:115], v[8:9], s[16:17], v[114:115]
	v_fma_f64 v[12:13], v[178:179], s[18:19], v[148:149]
	v_add_f64 v[148:149], v[156:157], v[136:137]
	v_fma_f64 v[116:117], v[118:119], s[10:11], v[116:117]
	v_fma_f64 v[174:175], v[110:111], s[8:9], v[174:175]
	;; [unrolled: 1-line block ×3, first 2 shown]
	v_add_f64 v[106:107], v[140:141], v[154:155]
	v_add_f64 v[140:141], v[124:125], v[128:129]
	v_fma_f64 v[152:153], v[178:179], s[16:17], v[122:123]
	v_fma_f64 v[122:123], v[178:179], s[20:21], v[122:123]
	;; [unrolled: 1-line block ×3, first 2 shown]
	v_add_f64 v[178:179], v[136:137], -v[132:133]
	v_fma_f64 v[108:109], v[112:113], s[10:11], v[174:175]
	v_fma_f64 v[120:121], v[112:113], s[10:11], v[110:111]
	;; [unrolled: 1-line block ×3, first 2 shown]
	v_add_f64 v[110:111], v[10:11], -v[14:15]
	v_add_f64 v[118:119], v[154:155], -v[150:151]
	;; [unrolled: 1-line block ×4, first 2 shown]
	v_fma_f64 v[150:151], v[8:9], s[18:19], v[152:153]
	v_fma_f64 v[8:9], v[8:9], s[8:9], v[122:123]
	v_add_f64 v[154:155], v[134:135], -v[138:139]
	v_add_f64 v[176:177], v[156:157], -v[128:129]
	buffer_load_dword v1, off, s[64:67], 0 offset:4 ; 4-byte Folded Reload
	v_add_f64 v[118:119], v[110:111], v[118:119]
	v_add_f64 v[110:111], v[140:141], v[156:157]
	;; [unrolled: 1-line block ×4, first 2 shown]
	v_fma_f64 v[140:141], v[148:149], -0.5, v[124:125]
	v_add_f64 v[148:149], v[130:131], -v[142:143]
	v_mov_b32_e32 v0, v255
	v_lshlrev_b32_e32 v182, 4, v0
	v_fma_f64 v[122:123], v[118:119], s[10:11], v[114:115]
	v_add_f64 v[152:153], v[110:111], v[136:137]
	v_fma_f64 v[110:111], v[118:119], s[10:11], v[12:13]
	v_fma_f64 v[118:119], v[10:11], s[10:11], v[8:9]
	v_fma_f64 v[8:9], v[14:15], -0.5, v[124:125]
	v_fma_f64 v[12:13], v[148:149], s[16:17], v[140:141]
	v_fma_f64 v[114:115], v[10:11], s[10:11], v[150:151]
	v_add_f64 v[10:11], v[128:129], -v[156:157]
	v_add_f64 v[14:15], v[132:133], -v[136:137]
	v_add_f64 v[124:125], v[152:153], v[132:133]
	v_fma_f64 v[140:141], v[148:149], s[20:21], v[140:141]
	v_add_f64 v[150:151], v[126:127], v[130:131]
	v_add_f64 v[152:153], v[134:135], v[138:139]
	v_fma_f64 v[174:175], v[154:155], s[20:21], v[8:9]
	v_fma_f64 v[12:13], v[154:155], s[8:9], v[12:13]
	;; [unrolled: 1-line block ×3, first 2 shown]
	v_add_f64 v[10:11], v[10:11], v[14:15]
	v_fma_f64 v[14:15], v[154:155], s[18:19], v[140:141]
	v_add_f64 v[140:141], v[150:151], v[134:135]
	v_fma_f64 v[150:151], v[152:153], -0.5, v[126:127]
	v_add_f64 v[152:153], v[128:129], -v[132:133]
	v_fma_f64 v[154:155], v[148:149], s[8:9], v[174:175]
	v_add_f64 v[174:175], v[176:177], v[178:179]
	v_fma_f64 v[128:129], v[10:11], s[10:11], v[12:13]
	v_fma_f64 v[8:9], v[148:149], s[18:19], v[8:9]
	;; [unrolled: 1-line block ×3, first 2 shown]
	v_add_f64 v[10:11], v[140:141], v[138:139]
	v_add_f64 v[12:13], v[130:131], v[142:143]
	v_fma_f64 v[14:15], v[152:153], s[20:21], v[150:151]
	v_add_f64 v[148:149], v[156:157], -v[136:137]
	v_fma_f64 v[136:137], v[174:175], s[10:11], v[154:155]
	v_add_f64 v[154:155], v[162:163], v[166:167]
	v_add_f64 v[156:157], v[130:131], -v[134:135]
	v_add_f64 v[176:177], v[142:143], -v[138:139]
	v_fma_f64 v[140:141], v[174:175], s[10:11], v[8:9]
	v_fma_f64 v[8:9], v[12:13], -0.5, v[126:127]
	v_add_f64 v[126:127], v[10:11], v[142:143]
	v_fma_f64 v[10:11], v[148:149], s[18:19], v[14:15]
	v_fma_f64 v[150:151], v[152:153], s[16:17], v[150:151]
	v_fma_f64 v[14:15], v[154:155], -0.5, v[144:145]
	v_add_f64 v[154:155], v[160:161], -v[172:173]
	v_add_f64 v[156:157], v[156:157], v[176:177]
	v_add_f64 v[130:131], v[134:135], -v[130:131]
	v_fma_f64 v[174:175], v[148:149], s[16:17], v[8:9]
	v_add_f64 v[134:135], v[138:139], -v[142:143]
	v_fma_f64 v[8:9], v[148:149], s[20:21], v[8:9]
	v_add_f64 v[176:177], v[164:165], -v[168:169]
	v_add_f64 v[142:143], v[158:159], -v[162:163]
	v_fma_f64 v[138:139], v[154:155], s[16:17], v[14:15]
	v_add_f64 v[178:179], v[170:171], -v[166:167]
	v_add_f64 v[12:13], v[144:145], v[158:159]
	v_fma_f64 v[148:149], v[148:149], s[8:9], v[150:151]
	v_fma_f64 v[174:175], v[152:153], s[18:19], v[174:175]
	v_add_f64 v[180:181], v[130:131], v[134:135]
	v_fma_f64 v[8:9], v[152:153], s[8:9], v[8:9]
	v_add_f64 v[150:151], v[158:159], v[170:171]
	;; [unrolled: 2-line block ×3, first 2 shown]
	v_add_f64 v[12:13], v[12:13], v[162:163]
	v_fma_f64 v[134:135], v[156:157], s[10:11], v[148:149]
	v_fma_f64 v[130:131], v[156:157], s[10:11], v[10:11]
	;; [unrolled: 1-line block ×4, first 2 shown]
	v_add_f64 v[8:9], v[164:165], v[168:169]
	v_fma_f64 v[10:11], v[150:151], -0.5, v[144:145]
	v_fma_f64 v[148:149], v[178:179], s[10:11], v[152:153]
	v_add_f64 v[152:153], v[160:161], v[172:173]
	v_add_f64 v[12:13], v[12:13], v[166:167]
	v_add_f64 v[150:151], v[162:163], -v[158:159]
	v_add_f64 v[156:157], v[166:167], -v[170:171]
	v_add_f64 v[174:175], v[146:147], v[160:161]
	v_fma_f64 v[8:9], v[8:9], -0.5, v[146:147]
	v_add_f64 v[158:159], v[158:159], -v[170:171]
	v_add_f64 v[162:163], v[162:163], -v[166:167]
	v_fma_f64 v[146:147], v[152:153], -0.5, v[146:147]
	v_add_f64 v[144:145], v[12:13], v[170:171]
	v_fma_f64 v[12:13], v[154:155], s[20:21], v[14:15]
	v_fma_f64 v[14:15], v[176:177], s[20:21], v[10:11]
	v_add_f64 v[150:151], v[150:151], v[156:157]
	v_fma_f64 v[10:11], v[176:177], s[16:17], v[10:11]
	v_add_f64 v[152:153], v[174:175], v[164:165]
	v_fma_f64 v[156:157], v[158:159], s[20:21], v[8:9]
	v_add_f64 v[166:167], v[160:161], -v[164:165]
	v_add_f64 v[170:171], v[172:173], -v[168:169]
	v_fma_f64 v[8:9], v[158:159], s[16:17], v[8:9]
	v_fma_f64 v[174:175], v[162:163], s[16:17], v[146:147]
	v_add_f64 v[160:161], v[164:165], -v[160:161]
	v_add_f64 v[164:165], v[168:169], -v[172:173]
	v_fma_f64 v[146:147], v[162:163], s[20:21], v[146:147]
	v_fma_f64 v[12:13], v[176:177], s[18:19], v[12:13]
	v_fma_f64 v[14:15], v[154:155], s[8:9], v[14:15]
	v_fma_f64 v[10:11], v[154:155], s[18:19], v[10:11]
	v_add_f64 v[152:153], v[152:153], v[168:169]
	v_fma_f64 v[154:155], v[162:163], s[18:19], v[156:157]
	v_add_f64 v[166:167], v[166:167], v[170:171]
	v_fma_f64 v[8:9], v[162:163], s[8:9], v[8:9]
	v_fma_f64 v[162:163], v[158:159], s[18:19], v[174:175]
	v_add_f64 v[160:161], v[160:161], v[164:165]
	v_fma_f64 v[174:175], v[158:159], s[8:9], v[146:147]
	v_fma_f64 v[168:169], v[178:179], s[10:11], v[12:13]
	;; [unrolled: 1-line block ×4, first 2 shown]
	v_add_f64 v[146:147], v[152:153], v[172:173]
	v_fma_f64 v[150:151], v[166:167], s[10:11], v[154:155]
	v_fma_f64 v[170:171], v[166:167], s[10:11], v[8:9]
	;; [unrolled: 1-line block ×4, first 2 shown]
	s_waitcnt vmcnt(0)
	v_lshl_add_u32 v255, v0, 4, v1
	v_add_u32_e32 v200, v182, v1
	ds_write_b128 v255, v[104:107]
	ds_write_b128 v255, v[108:111] offset:3536
	ds_write_b128 v255, v[112:115] offset:7072
	;; [unrolled: 1-line block ×4, first 2 shown]
	buffer_store_dword v0, off, s[64:67], 0 offset:32 ; 4-byte Folded Spill
	ds_write_b128 v255, v[124:127] offset:1360
	ds_write_b128 v200, v[128:131] offset:4896
	;; [unrolled: 1-line block ×5, first 2 shown]
	s_mov_b64 s[8:9], exec
	buffer_load_dword v24, off, s[64:67], 0 offset:8 ; 4-byte Folded Reload
	buffer_load_dword v25, off, s[64:67], 0 offset:12 ; 4-byte Folded Reload
	;; [unrolled: 1-line block ×4, first 2 shown]
	s_and_b64 s[10:11], s[8:9], s[2:3]
	s_mov_b64 exec, s[10:11]
	s_cbranch_execz .LBB0_11
; %bb.10:
	ds_write_b128 v255, v[144:147] offset:2720
	ds_write_b128 v255, v[148:151] offset:6256
	;; [unrolled: 1-line block ×5, first 2 shown]
.LBB0_11:
	s_or_b64 exec, exec, s[8:9]
	s_waitcnt vmcnt(0) lgkmcnt(0)
	s_barrier
	s_and_saveexec_b64 s[8:9], s[0:1]
	s_cbranch_execz .LBB0_13
; %bb.12:
	v_add_co_u32_e32 v152, vcc, s12, v182
	v_mov_b32_e32 v0, s13
	v_addc_co_u32_e32 v153, vcc, 0, v0, vcc
	v_add_co_u32_e32 v8, vcc, 0x4510, v152
	v_addc_co_u32_e32 v9, vcc, 0, v153, vcc
	v_add_co_u32_e32 v10, vcc, 0x4000, v152
	v_addc_co_u32_e32 v11, vcc, 0, v153, vcc
	global_load_dwordx4 v[172:175], v[10:11], off offset:1296
	ds_read_b128 v[160:163], v255
	s_movk_i32 s10, 0x5000
	s_waitcnt vmcnt(0) lgkmcnt(0)
	v_mul_f64 v[10:11], v[162:163], v[174:175]
	v_fma_f64 v[176:177], v[160:161], v[172:173], -v[10:11]
	v_mul_f64 v[10:11], v[160:161], v[174:175]
	v_fma_f64 v[178:179], v[162:163], v[172:173], v[10:11]
	global_load_dwordx4 v[172:175], v[8:9], off offset:1040
	ds_read_b128 v[160:163], v255 offset:1040
	ds_write_b128 v255, v[176:179]
	s_waitcnt vmcnt(0) lgkmcnt(1)
	v_mul_f64 v[10:11], v[162:163], v[174:175]
	v_fma_f64 v[176:177], v[160:161], v[172:173], -v[10:11]
	v_mul_f64 v[10:11], v[160:161], v[174:175]
	v_fma_f64 v[178:179], v[162:163], v[172:173], v[10:11]
	global_load_dwordx4 v[172:175], v[8:9], off offset:2080
	ds_read_b128 v[160:163], v255 offset:2080
	ds_write_b128 v255, v[176:179] offset:1040
	s_waitcnt vmcnt(0) lgkmcnt(1)
	v_mul_f64 v[10:11], v[162:163], v[174:175]
	v_fma_f64 v[176:177], v[160:161], v[172:173], -v[10:11]
	v_mul_f64 v[10:11], v[160:161], v[174:175]
	v_fma_f64 v[178:179], v[162:163], v[172:173], v[10:11]
	global_load_dwordx4 v[172:175], v[8:9], off offset:3120
	ds_read_b128 v[160:163], v255 offset:3120
	ds_write_b128 v255, v[176:179] offset:2080
	s_waitcnt vmcnt(0) lgkmcnt(1)
	v_mul_f64 v[8:9], v[162:163], v[174:175]
	v_fma_f64 v[176:177], v[160:161], v[172:173], -v[8:9]
	v_mul_f64 v[8:9], v[160:161], v[174:175]
	v_fma_f64 v[178:179], v[162:163], v[172:173], v[8:9]
	v_add_co_u32_e32 v8, vcc, s10, v152
	v_addc_co_u32_e32 v9, vcc, 0, v153, vcc
	global_load_dwordx4 v[172:175], v[8:9], off offset:1360
	ds_read_b128 v[160:163], v255 offset:4160
	s_movk_i32 s10, 0x6000
	ds_write_b128 v255, v[176:179] offset:3120
	s_waitcnt vmcnt(0) lgkmcnt(1)
	v_mul_f64 v[10:11], v[162:163], v[174:175]
	v_fma_f64 v[176:177], v[160:161], v[172:173], -v[10:11]
	v_mul_f64 v[10:11], v[160:161], v[174:175]
	v_fma_f64 v[178:179], v[162:163], v[172:173], v[10:11]
	global_load_dwordx4 v[172:175], v[8:9], off offset:2400
	ds_read_b128 v[160:163], v255 offset:5200
	ds_write_b128 v255, v[176:179] offset:4160
	s_waitcnt vmcnt(0) lgkmcnt(1)
	v_mul_f64 v[10:11], v[162:163], v[174:175]
	v_fma_f64 v[176:177], v[160:161], v[172:173], -v[10:11]
	v_mul_f64 v[10:11], v[160:161], v[174:175]
	v_fma_f64 v[178:179], v[162:163], v[172:173], v[10:11]
	global_load_dwordx4 v[172:175], v[8:9], off offset:3440
	ds_read_b128 v[160:163], v255 offset:6240
	ds_write_b128 v255, v[176:179] offset:5200
	s_waitcnt vmcnt(0) lgkmcnt(1)
	v_mul_f64 v[8:9], v[162:163], v[174:175]
	v_fma_f64 v[176:177], v[160:161], v[172:173], -v[8:9]
	v_mul_f64 v[8:9], v[160:161], v[174:175]
	v_fma_f64 v[178:179], v[162:163], v[172:173], v[8:9]
	v_add_co_u32_e32 v8, vcc, s10, v152
	v_addc_co_u32_e32 v9, vcc, 0, v153, vcc
	global_load_dwordx4 v[172:175], v[8:9], off offset:384
	ds_read_b128 v[160:163], v255 offset:7280
	s_movk_i32 s10, 0x7000
	ds_write_b128 v255, v[176:179] offset:6240
	s_waitcnt vmcnt(0) lgkmcnt(1)
	v_mul_f64 v[10:11], v[162:163], v[174:175]
	v_fma_f64 v[176:177], v[160:161], v[172:173], -v[10:11]
	v_mul_f64 v[10:11], v[160:161], v[174:175]
	v_fma_f64 v[178:179], v[162:163], v[172:173], v[10:11]
	global_load_dwordx4 v[172:175], v[8:9], off offset:1424
	ds_read_b128 v[160:163], v255 offset:8320
	ds_write_b128 v255, v[176:179] offset:7280
	s_waitcnt vmcnt(0) lgkmcnt(1)
	v_mul_f64 v[10:11], v[162:163], v[174:175]
	v_fma_f64 v[176:177], v[160:161], v[172:173], -v[10:11]
	v_mul_f64 v[10:11], v[160:161], v[174:175]
	v_fma_f64 v[178:179], v[162:163], v[172:173], v[10:11]
	global_load_dwordx4 v[172:175], v[8:9], off offset:2464
	ds_read_b128 v[160:163], v255 offset:9360
	;; [unrolled: 8-line block ×3, first 2 shown]
	ds_write_b128 v255, v[176:179] offset:9360
	s_waitcnt vmcnt(0) lgkmcnt(1)
	v_mul_f64 v[8:9], v[162:163], v[174:175]
	v_fma_f64 v[176:177], v[160:161], v[172:173], -v[8:9]
	v_mul_f64 v[8:9], v[160:161], v[174:175]
	v_fma_f64 v[178:179], v[162:163], v[172:173], v[8:9]
	v_add_co_u32_e32 v8, vcc, s10, v152
	v_addc_co_u32_e32 v9, vcc, 0, v153, vcc
	global_load_dwordx4 v[172:175], v[8:9], off offset:448
	ds_read_b128 v[160:163], v255 offset:11440
	s_mov_b32 s10, 0x8000
	ds_write_b128 v255, v[176:179] offset:10400
	s_waitcnt vmcnt(0) lgkmcnt(1)
	v_mul_f64 v[10:11], v[162:163], v[174:175]
	v_fma_f64 v[176:177], v[160:161], v[172:173], -v[10:11]
	v_mul_f64 v[10:11], v[160:161], v[174:175]
	v_fma_f64 v[178:179], v[162:163], v[172:173], v[10:11]
	global_load_dwordx4 v[172:175], v[8:9], off offset:1488
	ds_read_b128 v[160:163], v255 offset:12480
	ds_write_b128 v255, v[176:179] offset:11440
	s_waitcnt vmcnt(0) lgkmcnt(1)
	v_mul_f64 v[10:11], v[162:163], v[174:175]
	v_fma_f64 v[176:177], v[160:161], v[172:173], -v[10:11]
	v_mul_f64 v[10:11], v[160:161], v[174:175]
	v_fma_f64 v[178:179], v[162:163], v[172:173], v[10:11]
	global_load_dwordx4 v[172:175], v[8:9], off offset:2528
	ds_read_b128 v[160:163], v255 offset:13520
	;; [unrolled: 8-line block ×3, first 2 shown]
	ds_write_b128 v255, v[176:179] offset:13520
	s_waitcnt vmcnt(0) lgkmcnt(1)
	v_mul_f64 v[8:9], v[162:163], v[174:175]
	v_fma_f64 v[176:177], v[160:161], v[172:173], -v[8:9]
	v_mul_f64 v[8:9], v[160:161], v[174:175]
	v_fma_f64 v[178:179], v[162:163], v[172:173], v[8:9]
	v_add_co_u32_e32 v8, vcc, s10, v152
	v_addc_co_u32_e32 v9, vcc, 0, v153, vcc
	global_load_dwordx4 v[152:155], v[8:9], off offset:512
	ds_read_b128 v[160:163], v255 offset:15600
	ds_write_b128 v255, v[176:179] offset:14560
	s_waitcnt vmcnt(0) lgkmcnt(1)
	v_mul_f64 v[10:11], v[162:163], v[154:155]
	v_fma_f64 v[172:173], v[160:161], v[152:153], -v[10:11]
	v_mul_f64 v[10:11], v[160:161], v[154:155]
	v_fma_f64 v[174:175], v[162:163], v[152:153], v[10:11]
	global_load_dwordx4 v[160:163], v[8:9], off offset:1552
	ds_read_b128 v[152:155], v255 offset:16640
	ds_write_b128 v255, v[172:175] offset:15600
	s_waitcnt vmcnt(0) lgkmcnt(1)
	v_mul_f64 v[8:9], v[154:155], v[162:163]
	v_fma_f64 v[172:173], v[152:153], v[160:161], -v[8:9]
	v_mul_f64 v[8:9], v[152:153], v[162:163]
	v_fma_f64 v[174:175], v[154:155], v[160:161], v[8:9]
	ds_write_b128 v255, v[172:175] offset:16640
.LBB0_13:
	s_or_b64 exec, exec, s[8:9]
	s_waitcnt lgkmcnt(0)
	s_barrier
	s_and_saveexec_b64 s[8:9], s[0:1]
	s_cbranch_execz .LBB0_15
; %bb.14:
	ds_read_b128 v[104:107], v255
	ds_read_b128 v[108:111], v255 offset:1040
	ds_read_b128 v[112:115], v255 offset:2080
	;; [unrolled: 1-line block ×16, first 2 shown]
.LBB0_15:
	s_or_b64 exec, exec, s[8:9]
	s_waitcnt lgkmcnt(0)
	v_add_f64 v[0:1], v[110:111], -v[6:7]
	s_mov_b32 s16, 0x7c9e640b
	s_mov_b32 s17, 0xbfeca52d
	v_add_f64 v[201:202], v[108:109], v[4:5]
	v_add_f64 v[203:204], v[110:111], v[6:7]
	v_add_f64 v[2:3], v[114:115], -v[26:27]
	s_mov_b32 s8, 0x2b2883cd
	s_mov_b32 s24, 0x6c9a05f6
	v_mul_f64 v[60:61], v[0:1], s[16:17]
	s_mov_b32 s9, 0x3fdc86fa
	s_mov_b32 s25, 0xbfe9895b
	v_add_f64 v[217:218], v[108:109], -v[4:5]
	v_mul_f64 v[30:31], v[203:204], s[8:9]
	v_add_f64 v[207:208], v[112:113], v[24:25]
	v_add_f64 v[209:210], v[114:115], v[26:27]
	v_mul_f64 v[62:63], v[2:3], s[24:25]
	v_fma_f64 v[8:9], v[201:202], s[8:9], -v[60:61]
	s_mov_b32 s20, 0xeb564b22
	s_mov_b32 s18, 0x6ed5f1bb
	;; [unrolled: 1-line block ×4, first 2 shown]
	v_fma_f64 v[10:11], v[217:218], s[16:17], v[30:31]
	v_mul_f64 v[28:29], v[0:1], s[20:21]
	v_add_f64 v[227:228], v[112:113], -v[24:25]
	v_add_f64 v[8:9], v[104:105], v[8:9]
	v_mul_f64 v[32:33], v[209:210], s[18:19]
	v_fma_f64 v[152:153], v[207:208], s[18:19], -v[62:63]
	s_mov_b32 s10, 0x3259b75e
	s_mov_b32 s26, 0xacd6c6b4
	;; [unrolled: 1-line block ×4, first 2 shown]
	v_add_f64 v[10:11], v[106:107], v[10:11]
	v_mul_f64 v[38:39], v[203:204], s[10:11]
	v_fma_f64 v[12:13], v[201:202], s[10:11], -v[28:29]
	v_add_f64 v[8:9], v[152:153], v[8:9]
	v_fma_f64 v[152:153], v[227:228], s[24:25], v[32:33]
	v_mul_f64 v[34:35], v[2:3], s[26:27]
	s_mov_b32 s22, 0x7faef3
	s_mov_b32 s23, 0xbfef7484
	v_mul_f64 v[64:65], v[209:210], s[22:23]
	v_fma_f64 v[14:15], v[217:218], s[20:21], v[38:39]
	v_add_f64 v[12:13], v[104:105], v[12:13]
	v_add_f64 v[16:17], v[118:119], -v[170:171]
	v_add_f64 v[10:11], v[152:153], v[10:11]
	v_fma_f64 v[152:153], v[207:208], s[22:23], -v[34:35]
	s_mov_b32 s48, s26
	v_add_f64 v[213:214], v[116:117], v[168:169]
	v_add_f64 v[215:216], v[118:119], v[170:171]
	;; [unrolled: 1-line block ×4, first 2 shown]
	v_mul_f64 v[72:73], v[16:17], s[48:49]
	v_add_f64 v[225:226], v[116:117], -v[168:169]
	v_add_f64 v[12:13], v[152:153], v[12:13]
	v_fma_f64 v[152:153], v[227:228], s[26:27], v[64:65]
	s_mov_b32 s44, 0x923c349f
	v_mul_f64 v[36:37], v[215:216], s[22:23]
	s_mov_b32 s45, 0x3feec746
	v_mul_f64 v[66:67], v[235:236], s[8:9]
	v_mul_f64 v[183:184], v[16:17], s[44:45]
	buffer_store_dword v66, off, s[64:67], 0 offset:8 ; 4-byte Folded Spill
	s_nop 0
	buffer_store_dword v67, off, s[64:67], 0 offset:12 ; 4-byte Folded Spill
	v_add_f64 v[14:15], v[152:153], v[14:15]
	v_fma_f64 v[152:153], v[213:214], s[22:23], -v[72:73]
	s_mov_b32 s28, 0xc61f0d01
	s_mov_b32 s29, 0xbfd183b1
	v_mul_f64 v[192:193], v[215:216], s[28:29]
	v_add_f64 v[229:230], v[122:123], -v[166:167]
	v_add_f64 v[221:222], v[120:121], v[164:165]
	v_add_f64 v[223:224], v[122:123], v[166:167]
	v_add_f64 v[231:232], v[120:121], -v[164:165]
	v_add_f64 v[8:9], v[152:153], v[8:9]
	v_fma_f64 v[152:153], v[225:226], s[48:49], v[36:37]
	s_mov_b32 s46, 0x5d8e7cdc
	s_mov_b32 s47, 0x3fd71e95
	v_mul_f64 v[18:19], v[229:230], s[44:45]
	v_mul_f64 v[196:197], v[229:230], s[46:47]
	;; [unrolled: 1-line block ×3, first 2 shown]
	s_mov_b32 s30, 0x370991
	s_mov_b32 s31, 0x3fedd6d0
	v_add_f64 v[10:11], v[152:153], v[10:11]
	v_fma_f64 v[152:153], v[213:214], s[28:29], -v[183:184]
	v_mul_f64 v[198:199], v[223:224], s[30:31]
	v_add_f64 v[239:240], v[126:127], -v[158:159]
	s_mov_b32 s52, 0x2a9d6da3
	s_mov_b32 s53, 0x3fe58eea
	v_add_f64 v[233:234], v[124:125], v[156:157]
	s_mov_b32 s34, 0x75d4884
	s_mov_b32 s35, 0x3fe7a5f6
	v_add_f64 v[12:13], v[152:153], v[12:13]
	v_fma_f64 v[152:153], v[225:226], s[44:45], v[192:193]
	v_mul_f64 v[20:21], v[239:240], s[52:53]
	v_add_f64 v[243:244], v[124:125], -v[156:157]
	v_mul_f64 v[188:189], v[235:236], s[34:35]
	v_mul_f64 v[211:212], v[239:240], s[16:17]
	v_add_f64 v[249:250], v[130:131], -v[150:151]
	s_mov_b32 s39, 0xbfd71e95
	s_mov_b32 s38, s46
	v_add_f64 v[14:15], v[152:153], v[14:15]
	v_fma_f64 v[152:153], v[221:222], s[28:29], -v[18:19]
	v_add_f64 v[237:238], v[128:129], v[148:149]
	v_add_f64 v[241:242], v[130:131], v[150:151]
	v_add_f64 v[251:252], v[128:129], -v[148:149]
	s_mov_b32 s42, 0x4363dd80
	s_mov_b32 s43, 0xbfe0d888
	;; [unrolled: 1-line block ×4, first 2 shown]
	v_add_f64 v[8:9], v[152:153], v[8:9]
	v_fma_f64 v[152:153], v[231:232], s[44:45], v[22:23]
	v_mul_f64 v[190:191], v[241:242], s[30:31]
	v_mul_f64 v[154:155], v[241:242], s[36:37]
	v_add_f64 v[176:177], v[138:139], -v[146:147]
	v_add_f64 v[247:248], v[136:137], v[144:145]
	v_add_f64 v[253:254], v[138:139], v[146:147]
	v_add_f64 v[245:246], v[136:137], -v[144:145]
	s_mov_b32 s57, 0x3fe9895b
	v_add_f64 v[10:11], v[152:153], v[10:11]
	v_fma_f64 v[152:153], v[221:222], s[30:31], -v[196:197]
	s_mov_b32 s56, s24
	v_mul_f64 v[194:195], v[176:177], s[20:21]
	v_add_f64 v[174:175], v[142:143], v[134:135]
	v_mul_f64 v[219:220], v[253:254], s[10:11]
	v_add_f64 v[180:181], v[142:143], -v[134:135]
	v_add_f64 v[172:173], v[140:141], v[132:133]
	v_add_f64 v[178:179], v[140:141], -v[132:133]
	v_add_f64 v[12:13], v[152:153], v[12:13]
	v_fma_f64 v[152:153], v[231:232], s[46:47], v[198:199]
	v_mul_f64 v[162:163], v[174:175], s[34:35]
	v_mul_f64 v[205:206], v[180:181], s[42:43]
	v_add_f64 v[14:15], v[152:153], v[14:15]
	v_fma_f64 v[152:153], v[233:234], s[34:35], -v[20:21]
	v_add_f64 v[8:9], v[152:153], v[8:9]
	v_fma_f64 v[152:153], v[243:244], s[52:53], v[188:189]
	v_add_f64 v[10:11], v[152:153], v[10:11]
	v_fma_f64 v[152:153], v[233:234], s[8:9], -v[211:212]
	v_add_f64 v[12:13], v[152:153], v[12:13]
	v_fma_f64 v[152:153], v[243:244], s[16:17], v[66:67]
	v_mul_f64 v[66:67], v[249:250], s[38:39]
	v_add_f64 v[14:15], v[152:153], v[14:15]
	v_fma_f64 v[152:153], v[237:238], s[30:31], -v[66:67]
	v_add_f64 v[8:9], v[152:153], v[8:9]
	v_fma_f64 v[152:153], v[251:252], s[38:39], v[190:191]
	v_add_f64 v[10:11], v[152:153], v[10:11]
	v_mul_f64 v[152:153], v[249:250], s[42:43]
	buffer_store_dword v152, off, s[64:67], 0 offset:216 ; 4-byte Folded Spill
	s_nop 0
	buffer_store_dword v153, off, s[64:67], 0 offset:220 ; 4-byte Folded Spill
	buffer_store_dword v154, off, s[64:67], 0 offset:240 ; 4-byte Folded Spill
	s_nop 0
	buffer_store_dword v155, off, s[64:67], 0 offset:244 ; 4-byte Folded Spill
	v_fma_f64 v[152:153], v[237:238], s[36:37], -v[152:153]
	v_add_f64 v[12:13], v[152:153], v[12:13]
	v_fma_f64 v[152:153], v[251:252], s[42:43], v[154:155]
	v_mul_f64 v[154:155], v[253:254], s[18:19]
	v_add_f64 v[14:15], v[152:153], v[14:15]
	v_fma_f64 v[152:153], v[247:248], s[10:11], -v[194:195]
	v_add_f64 v[8:9], v[152:153], v[8:9]
	v_fma_f64 v[152:153], v[245:246], s[20:21], v[219:220]
	v_add_f64 v[10:11], v[152:153], v[10:11]
	v_mul_f64 v[152:153], v[176:177], s[56:57]
	buffer_store_dword v152, off, s[64:67], 0 offset:232 ; 4-byte Folded Spill
	s_nop 0
	buffer_store_dword v153, off, s[64:67], 0 offset:236 ; 4-byte Folded Spill
	buffer_store_dword v154, off, s[64:67], 0 offset:256 ; 4-byte Folded Spill
	s_nop 0
	buffer_store_dword v155, off, s[64:67], 0 offset:260 ; 4-byte Folded Spill
	v_fma_f64 v[152:153], v[247:248], s[18:19], -v[152:153]
	v_add_f64 v[12:13], v[152:153], v[12:13]
	v_fma_f64 v[152:153], v[245:246], s[56:57], v[154:155]
	v_mul_f64 v[154:155], v[174:175], s[36:37]
	buffer_store_dword v154, off, s[64:67], 0 offset:224 ; 4-byte Folded Spill
	s_nop 0
	buffer_store_dword v155, off, s[64:67], 0 offset:228 ; 4-byte Folded Spill
	buffer_store_dword v162, off, s[64:67], 0 offset:248 ; 4-byte Folded Spill
	s_nop 0
	buffer_store_dword v163, off, s[64:67], 0 offset:252 ; 4-byte Folded Spill
	v_add_f64 v[14:15], v[152:153], v[14:15]
	v_fma_f64 v[152:153], v[172:173], s[36:37], -v[205:206]
	s_waitcnt vmcnt(0)
	s_barrier
	v_add_f64 v[152:153], v[152:153], v[8:9]
	v_fma_f64 v[8:9], v[178:179], s[42:43], v[154:155]
	v_add_f64 v[154:155], v[8:9], v[10:11]
	v_mul_f64 v[10:11], v[180:181], s[52:53]
	v_fma_f64 v[8:9], v[172:173], s[34:35], -v[10:11]
	v_add_f64 v[160:161], v[8:9], v[12:13]
	v_fma_f64 v[8:9], v[178:179], s[52:53], v[162:163]
	v_add_f64 v[162:163], v[8:9], v[14:15]
	s_and_saveexec_b64 s[40:41], s[0:1]
	s_cbranch_execz .LBB0_17
; %bb.16:
	v_mul_f64 v[8:9], v[217:218], s[26:27]
	buffer_store_dword v10, off, s[64:67], 0 offset:336 ; 4-byte Folded Spill
	s_nop 0
	buffer_store_dword v11, off, s[64:67], 0 offset:340 ; 4-byte Folded Spill
	v_mul_f64 v[10:11], v[227:228], s[46:47]
	buffer_store_dword v188, off, s[64:67], 0 offset:368 ; 4-byte Folded Spill
	s_nop 0
	buffer_store_dword v189, off, s[64:67], 0 offset:372 ; 4-byte Folded Spill
	buffer_store_dword v190, off, s[64:67], 0 offset:360 ; 4-byte Folded Spill
	s_nop 0
	buffer_store_dword v191, off, s[64:67], 0 offset:364 ; 4-byte Folded Spill
	;; [unrolled: 3-line block ×3, first 2 shown]
	v_mul_f64 v[14:15], v[0:1], s[26:27]
	v_mul_f64 v[190:191], v[225:226], s[42:43]
	v_fma_f64 v[12:13], v[203:204], s[22:23], v[8:9]
	buffer_store_dword v194, off, s[64:67], 0 offset:320 ; 4-byte Folded Spill
	s_nop 0
	buffer_store_dword v195, off, s[64:67], 0 offset:324 ; 4-byte Folded Spill
	v_fma_f64 v[192:193], v[209:210], s[30:31], v[10:11]
	buffer_store_dword v196, off, s[64:67], 0 offset:416 ; 4-byte Folded Spill
	s_nop 0
	buffer_store_dword v197, off, s[64:67], 0 offset:420 ; 4-byte Folded Spill
	buffer_store_dword v198, off, s[64:67], 0 offset:456 ; 4-byte Folded Spill
	s_nop 0
	buffer_store_dword v199, off, s[64:67], 0 offset:460 ; 4-byte Folded Spill
	;; [unrolled: 3-line block ×6, first 2 shown]
	v_add_f64 v[12:13], v[106:107], v[12:13]
	buffer_store_dword v18, off, s[64:67], 0 offset:352 ; 4-byte Folded Spill
	s_nop 0
	buffer_store_dword v19, off, s[64:67], 0 offset:356 ; 4-byte Folded Spill
	v_mul_f64 v[194:195], v[231:232], s[52:53]
	v_mul_f64 v[198:199], v[2:3], s[46:47]
	v_fma_f64 v[182:183], v[201:202], s[22:23], -v[14:15]
	v_fma_f64 v[18:19], v[215:216], s[36:37], v[190:191]
	v_mov_b32_e32 v206, v17
	v_mov_b32_e32 v205, v16
	v_add_f64 v[12:13], v[192:193], v[12:13]
	buffer_store_dword v20, off, s[64:67], 0 offset:344 ; 4-byte Folded Spill
	s_nop 0
	buffer_store_dword v21, off, s[64:67], 0 offset:348 ; 4-byte Folded Spill
	buffer_store_dword v22, off, s[64:67], 0 offset:440 ; 4-byte Folded Spill
	s_nop 0
	buffer_store_dword v23, off, s[64:67], 0 offset:444 ; 4-byte Folded Spill
	;; [unrolled: 3-line block ×4, first 2 shown]
	buffer_store_dword v6, off, s[64:67], 0 offset:280 ; 4-byte Folded Spill
	buffer_store_dword v7, off, s[64:67], 0 offset:284 ; 4-byte Folded Spill
	v_mul_f64 v[188:189], v[243:244], s[24:25]
	v_mul_f64 v[16:17], v[205:206], s[42:43]
	v_fma_f64 v[22:23], v[207:208], s[30:31], -v[198:199]
	v_add_f64 v[182:183], v[104:105], v[182:183]
	v_fma_f64 v[4:5], v[223:224], s[34:35], v[194:195]
	v_add_f64 v[6:7], v[18:19], v[12:13]
	s_mov_b32 s55, 0x3feca52d
	s_mov_b32 s54, s16
	v_mov_b32_e32 v30, v205
	buffer_store_dword v211, off, s[64:67], 0 offset:496 ; 4-byte Folded Spill
	s_nop 0
	buffer_store_dword v212, off, s[64:67], 0 offset:500 ; 4-byte Folded Spill
	v_mul_f64 v[184:185], v[229:230], s[52:53]
	v_mov_b32_e32 v31, v206
	v_mul_f64 v[18:19], v[251:252], s[54:55]
	v_fma_f64 v[205:206], v[213:214], s[36:37], -v[16:17]
	v_add_f64 v[22:23], v[22:23], v[182:183]
	v_fma_f64 v[211:212], v[235:236], s[18:19], v[188:189]
	v_fma_f64 v[8:9], v[203:204], s[22:23], -v[8:9]
	v_add_f64 v[4:5], v[4:5], v[6:7]
	s_mov_b32 s51, 0xbfeec746
	s_mov_b32 s50, s44
	v_mov_b32_e32 v65, v1
	buffer_store_dword v219, off, s[64:67], 0 offset:400 ; 4-byte Folded Spill
	s_nop 0
	buffer_store_dword v220, off, s[64:67], 0 offset:404 ; 4-byte Folded Spill
	v_mul_f64 v[196:197], v[239:240], s[24:25]
	v_mov_b32_e32 v64, v0
	v_mul_f64 v[0:1], v[217:218], s[42:43]
	v_mul_f64 v[12:13], v[245:246], s[50:51]
	v_fma_f64 v[219:220], v[221:222], s[34:35], -v[184:185]
	v_fma_f64 v[14:15], v[201:202], s[22:23], v[14:15]
	v_add_f64 v[22:23], v[205:206], v[22:23]
	v_fma_f64 v[10:11], v[209:210], s[30:31], -v[10:11]
	v_add_f64 v[8:9], v[106:107], v[8:9]
	v_add_f64 v[4:5], v[211:212], v[4:5]
	v_fma_f64 v[211:212], v[241:242], s[8:9], v[18:19]
	s_mov_b32 s61, 0x3fefdd0d
	s_mov_b32 s60, s20
	v_mov_b32_e32 v73, v3
	v_mov_b32_e32 v72, v2
	v_mul_f64 v[2:3], v[178:179], s[60:61]
	v_mul_f64 v[6:7], v[249:250], s[54:55]
	v_mul_f64 v[205:206], v[227:228], s[54:55]
	v_fma_f64 v[198:199], v[207:208], s[30:31], v[198:199]
	v_add_f64 v[14:15], v[104:105], v[14:15]
	v_add_f64 v[22:23], v[219:220], v[22:23]
	v_fma_f64 v[219:220], v[233:234], s[18:19], -v[196:197]
	v_fma_f64 v[190:191], v[215:216], s[36:37], -v[190:191]
	v_add_f64 v[8:9], v[10:11], v[8:9]
	v_fma_f64 v[10:11], v[203:204], s[36:37], v[0:1]
	v_add_f64 v[4:5], v[211:212], v[4:5]
	v_fma_f64 v[211:212], v[253:254], s[28:29], v[12:13]
	v_mul_f64 v[20:21], v[225:226], s[20:21]
	v_add_f64 v[14:15], v[198:199], v[14:15]
	v_fma_f64 v[198:199], v[237:238], s[8:9], -v[6:7]
	v_add_f64 v[22:23], v[219:220], v[22:23]
	v_mul_f64 v[219:220], v[176:177], s[50:51]
	v_fma_f64 v[194:195], v[223:224], s[34:35], -v[194:195]
	v_add_f64 v[8:9], v[190:191], v[8:9]
	v_fma_f64 v[190:191], v[174:175], s[10:11], v[2:3]
	v_add_f64 v[4:5], v[211:212], v[4:5]
	v_fma_f64 v[211:212], v[209:210], s[8:9], v[205:206]
	;; [unrolled: 2-line block ×3, first 2 shown]
	buffer_store_dword v62, off, s[64:67], 0 offset:488 ; 4-byte Folded Spill
	s_nop 0
	buffer_store_dword v63, off, s[64:67], 0 offset:492 ; 4-byte Folded Spill
	v_mul_f64 v[192:193], v[231:232], s[56:57]
	v_mul_f64 v[182:183], v[180:181], s[60:61]
	v_add_f64 v[22:23], v[198:199], v[22:23]
	v_fma_f64 v[198:199], v[247:248], s[28:29], -v[219:220]
	v_fma_f64 v[188:189], v[235:236], s[18:19], -v[188:189]
	v_add_f64 v[8:9], v[194:195], v[8:9]
	v_add_f64 v[62:63], v[190:191], v[4:5]
	;; [unrolled: 1-line block ×3, first 2 shown]
	v_fma_f64 v[10:11], v[215:216], s[10:11], v[20:21]
	v_fma_f64 v[184:185], v[221:222], s[34:35], v[184:185]
	v_add_f64 v[14:15], v[16:17], v[14:15]
	v_fma_f64 v[194:195], v[172:173], s[10:11], -v[182:183]
	v_add_f64 v[22:23], v[198:199], v[22:23]
	v_add_f64 v[8:9], v[188:189], v[8:9]
	v_mul_f64 v[16:17], v[243:244], s[38:39]
	v_fma_f64 v[188:189], v[223:224], s[18:19], v[192:193]
	v_add_f64 v[4:5], v[10:11], v[4:5]
	v_fma_f64 v[10:11], v[253:254], s[28:29], -v[12:13]
	v_fma_f64 v[12:13], v[233:234], s[18:19], v[196:197]
	v_add_f64 v[14:15], v[184:185], v[14:15]
	buffer_store_dword v60, off, s[64:67], 0 offset:512 ; 4-byte Folded Spill
	s_nop 0
	buffer_store_dword v61, off, s[64:67], 0 offset:516 ; 4-byte Folded Spill
	v_fma_f64 v[18:19], v[241:242], s[8:9], -v[18:19]
	v_add_f64 v[60:61], v[194:195], v[22:23]
	v_fma_f64 v[22:23], v[235:236], s[30:31], v[16:17]
	v_add_f64 v[4:5], v[188:189], v[4:5]
	v_fma_f64 v[6:7], v[237:238], s[8:9], v[6:7]
	v_mul_f64 v[184:185], v[64:65], s[42:43]
	v_add_f64 v[12:13], v[12:13], v[14:15]
	v_mul_f64 v[188:189], v[72:73], s[54:55]
	v_add_f64 v[8:9], v[18:19], v[8:9]
	v_mul_f64 v[18:19], v[251:252], s[26:27]
	buffer_store_dword v60, off, s[64:67], 0 offset:288 ; 4-byte Folded Spill
	s_nop 0
	buffer_store_dword v61, off, s[64:67], 0 offset:292 ; 4-byte Folded Spill
	buffer_store_dword v62, off, s[64:67], 0 offset:296 ; 4-byte Folded Spill
	;; [unrolled: 1-line block ×3, first 2 shown]
	v_add_f64 v[4:5], v[22:23], v[4:5]
	v_fma_f64 v[22:23], v[247:248], s[28:29], v[219:220]
	v_fma_f64 v[190:191], v[201:202], s[36:37], -v[184:185]
	v_add_f64 v[6:7], v[6:7], v[12:13]
	v_fma_f64 v[12:13], v[172:173], s[10:11], v[182:183]
	v_add_f64 v[8:9], v[10:11], v[8:9]
	v_mul_f64 v[10:11], v[245:246], s[52:53]
	v_fma_f64 v[14:15], v[241:242], s[22:23], v[18:19]
	v_fma_f64 v[2:3], v[174:175], s[10:11], -v[2:3]
	v_mul_f64 v[182:183], v[178:179], s[50:51]
	v_fma_f64 v[196:197], v[207:208], s[8:9], -v[188:189]
	v_add_f64 v[6:7], v[22:23], v[6:7]
	v_add_f64 v[190:191], v[104:105], v[190:191]
	v_fma_f64 v[0:1], v[203:204], s[36:37], -v[0:1]
	v_fma_f64 v[194:195], v[253:254], s[34:35], v[10:11]
	v_add_f64 v[4:5], v[14:15], v[4:5]
	v_mul_f64 v[14:15], v[30:31], s[20:21]
	v_add_f64 v[62:63], v[2:3], v[8:9]
	v_fma_f64 v[2:3], v[174:175], s[28:29], v[182:183]
	v_add_f64 v[60:61], v[12:13], v[6:7]
	v_fma_f64 v[6:7], v[201:202], s[36:37], v[184:185]
	v_mul_f64 v[8:9], v[229:230], s[56:57]
	v_add_f64 v[190:191], v[196:197], v[190:191]
	v_add_f64 v[4:5], v[194:195], v[4:5]
	v_fma_f64 v[22:23], v[213:214], s[10:11], -v[14:15]
	v_fma_f64 v[12:13], v[209:210], s[8:9], -v[205:206]
	v_add_f64 v[0:1], v[106:107], v[0:1]
	v_fma_f64 v[184:185], v[207:208], s[8:9], v[188:189]
	v_add_f64 v[6:7], v[104:105], v[6:7]
	buffer_store_dword v60, off, s[64:67], 0 offset:304 ; 4-byte Folded Spill
	s_nop 0
	buffer_store_dword v61, off, s[64:67], 0 offset:308 ; 4-byte Folded Spill
	buffer_store_dword v62, off, s[64:67], 0 offset:312 ; 4-byte Folded Spill
	;; [unrolled: 1-line block ×3, first 2 shown]
	v_fma_f64 v[20:21], v[215:216], s[10:11], -v[20:21]
	v_add_f64 v[62:63], v[2:3], v[4:5]
	v_fma_f64 v[4:5], v[221:222], s[18:19], -v[8:9]
	v_add_f64 v[22:23], v[22:23], v[190:191]
	v_add_f64 v[0:1], v[12:13], v[0:1]
	v_fma_f64 v[14:15], v[213:214], s[10:11], v[14:15]
	v_add_f64 v[6:7], v[184:185], v[6:7]
	v_mul_f64 v[2:3], v[239:240], s[38:39]
	v_fma_f64 v[8:9], v[221:222], s[18:19], v[8:9]
	v_mul_f64 v[188:189], v[249:250], s[26:27]
	v_mul_f64 v[12:13], v[180:181], s[50:51]
	v_add_f64 v[4:5], v[4:5], v[22:23]
	v_fma_f64 v[22:23], v[223:224], s[18:19], -v[192:193]
	v_add_f64 v[0:1], v[20:21], v[0:1]
	v_add_f64 v[6:7], v[14:15], v[6:7]
	v_fma_f64 v[190:191], v[233:234], s[30:31], -v[2:3]
	v_mul_f64 v[192:193], v[217:218], s[24:25]
	v_fma_f64 v[14:15], v[235:236], s[30:31], -v[16:17]
	v_fma_f64 v[2:3], v[233:234], s[30:31], v[2:3]
	v_fma_f64 v[184:185], v[237:238], s[22:23], -v[188:189]
	v_mul_f64 v[16:17], v[176:177], s[52:53]
	v_add_f64 v[0:1], v[22:23], v[0:1]
	v_add_f64 v[6:7], v[8:9], v[6:7]
	;; [unrolled: 1-line block ×3, first 2 shown]
	v_mul_f64 v[22:23], v[227:228], s[44:45]
	v_fma_f64 v[190:191], v[203:204], s[18:19], v[192:193]
	v_fma_f64 v[8:9], v[241:242], s[22:23], -v[18:19]
	v_fma_f64 v[188:189], v[237:238], s[22:23], v[188:189]
	v_fma_f64 v[20:21], v[172:173], s[28:29], -v[12:13]
	v_add_f64 v[0:1], v[14:15], v[0:1]
	v_add_f64 v[2:3], v[2:3], v[6:7]
	;; [unrolled: 1-line block ×3, first 2 shown]
	v_mul_f64 v[14:15], v[225:226], s[38:39]
	v_fma_f64 v[18:19], v[209:210], s[28:29], v[22:23]
	v_add_f64 v[184:185], v[106:107], v[190:191]
	v_fma_f64 v[190:191], v[247:248], s[34:35], -v[16:17]
	v_fma_f64 v[6:7], v[253:254], s[34:35], -v[10:11]
	v_add_f64 v[0:1], v[8:9], v[0:1]
	v_fma_f64 v[16:17], v[247:248], s[34:35], v[16:17]
	v_add_f64 v[2:3], v[188:189], v[2:3]
	v_mul_f64 v[8:9], v[231:232], s[42:43]
	v_fma_f64 v[10:11], v[215:216], s[30:31], v[14:15]
	v_add_f64 v[18:19], v[18:19], v[184:185]
	v_add_f64 v[4:5], v[190:191], v[4:5]
	v_fma_f64 v[182:183], v[174:175], s[28:29], -v[182:183]
	v_add_f64 v[0:1], v[6:7], v[0:1]
	v_fma_f64 v[12:13], v[172:173], s[28:29], v[12:13]
	v_add_f64 v[2:3], v[16:17], v[2:3]
	v_mul_f64 v[6:7], v[243:244], s[60:61]
	v_fma_f64 v[184:185], v[223:224], s[36:37], v[8:9]
	v_add_f64 v[10:11], v[10:11], v[18:19]
	v_mul_f64 v[18:19], v[64:65], s[24:25]
	s_mov_b32 s59, 0xbfe58eea
	s_mov_b32 s58, s52
	v_add_f64 v[60:61], v[20:21], v[4:5]
	v_add_f64 v[4:5], v[182:183], v[0:1]
	;; [unrolled: 1-line block ×3, first 2 shown]
	v_mul_f64 v[16:17], v[251:252], s[58:59]
	v_fma_f64 v[188:189], v[235:236], s[10:11], v[6:7]
	v_add_f64 v[10:11], v[184:185], v[10:11]
	v_mul_f64 v[184:185], v[72:73], s[44:45]
	v_fma_f64 v[190:191], v[201:202], s[18:19], -v[18:19]
	v_mov_b32_e32 v199, v31
	buffer_store_dword v60, off, s[64:67], 0 offset:384 ; 4-byte Folded Spill
	s_nop 0
	buffer_store_dword v61, off, s[64:67], 0 offset:388 ; 4-byte Folded Spill
	buffer_store_dword v62, off, s[64:67], 0 offset:392 ; 4-byte Folded Spill
	;; [unrolled: 1-line block ×4, first 2 shown]
	s_nop 0
	buffer_store_dword v3, off, s[64:67], 0 offset:428 ; 4-byte Folded Spill
	buffer_store_dword v4, off, s[64:67], 0 offset:432 ; 4-byte Folded Spill
	;; [unrolled: 1-line block ×3, first 2 shown]
	v_mov_b32_e32 v198, v30
	v_mul_f64 v[0:1], v[245:246], s[26:27]
	v_fma_f64 v[2:3], v[241:242], s[34:35], v[16:17]
	v_add_f64 v[4:5], v[188:189], v[10:11]
	v_fma_f64 v[10:11], v[207:208], s[28:29], -v[184:185]
	v_add_f64 v[12:13], v[104:105], v[190:191]
	v_mul_f64 v[20:21], v[198:199], s[38:39]
	v_fma_f64 v[22:23], v[209:210], s[28:29], -v[22:23]
	v_fma_f64 v[14:15], v[215:216], s[30:31], -v[14:15]
	v_fma_f64 v[182:183], v[253:254], s[22:23], v[0:1]
	v_fma_f64 v[8:9], v[223:224], s[36:37], -v[8:9]
	v_add_f64 v[2:3], v[2:3], v[4:5]
	v_mul_f64 v[4:5], v[229:230], s[42:43]
	v_add_f64 v[10:11], v[10:11], v[12:13]
	v_fma_f64 v[12:13], v[213:214], s[30:31], -v[20:21]
	v_fma_f64 v[6:7], v[235:236], s[10:11], -v[6:7]
	s_mov_b32 s63, 0x3fe0d888
	s_mov_b32 s62, s42
	v_fma_f64 v[0:1], v[253:254], s[22:23], -v[0:1]
	v_add_f64 v[2:3], v[182:183], v[2:3]
	v_fma_f64 v[182:183], v[221:222], s[36:37], -v[4:5]
	v_fma_f64 v[4:5], v[221:222], s[36:37], v[4:5]
	v_add_f64 v[10:11], v[12:13], v[10:11]
	v_mul_f64 v[12:13], v[239:240], s[60:61]
	v_mul_f64 v[205:206], v[178:179], s[24:25]
	;; [unrolled: 1-line block ×4, first 2 shown]
	v_add_f64 v[10:11], v[182:183], v[10:11]
	v_fma_f64 v[182:183], v[233:234], s[10:11], -v[12:13]
	v_fma_f64 v[12:13], v[233:234], s[10:11], v[12:13]
	v_add_f64 v[10:11], v[182:183], v[10:11]
	v_mul_f64 v[182:183], v[249:250], s[58:59]
	v_fma_f64 v[188:189], v[237:238], s[34:35], -v[182:183]
	v_add_f64 v[10:11], v[188:189], v[10:11]
	v_mul_f64 v[188:189], v[176:177], s[26:27]
	v_fma_f64 v[190:191], v[247:248], s[22:23], -v[188:189]
	v_add_f64 v[10:11], v[190:191], v[10:11]
	v_mul_f64 v[190:191], v[178:179], s[54:55]
	v_fma_f64 v[194:195], v[174:175], s[8:9], v[190:191]
	v_add_f64 v[62:63], v[194:195], v[2:3]
	v_mul_f64 v[2:3], v[180:181], s[54:55]
	v_fma_f64 v[194:195], v[172:173], s[8:9], -v[2:3]
	v_fma_f64 v[2:3], v[172:173], s[8:9], v[2:3]
	v_add_f64 v[60:61], v[194:195], v[10:11]
	v_fma_f64 v[10:11], v[203:204], s[18:19], -v[192:193]
	buffer_store_dword v60, off, s[64:67], 0 offset:464 ; 4-byte Folded Spill
	s_nop 0
	buffer_store_dword v61, off, s[64:67], 0 offset:468 ; 4-byte Folded Spill
	buffer_store_dword v62, off, s[64:67], 0 offset:472 ; 4-byte Folded Spill
	buffer_store_dword v63, off, s[64:67], 0 offset:476 ; 4-byte Folded Spill
	v_add_f64 v[10:11], v[106:107], v[10:11]
	v_add_f64 v[10:11], v[22:23], v[10:11]
	v_fma_f64 v[22:23], v[247:248], s[22:23], v[188:189]
	v_add_f64 v[10:11], v[14:15], v[10:11]
	v_fma_f64 v[14:15], v[241:242], s[34:35], -v[16:17]
	v_mul_f64 v[16:17], v[217:218], s[50:51]
	v_add_f64 v[8:9], v[8:9], v[10:11]
	v_fma_f64 v[10:11], v[201:202], s[18:19], v[18:19]
	v_fma_f64 v[18:19], v[203:204], s[28:29], v[16:17]
	v_add_f64 v[6:7], v[6:7], v[8:9]
	v_fma_f64 v[8:9], v[207:208], s[28:29], v[184:185]
	v_add_f64 v[10:11], v[104:105], v[10:11]
	v_add_f64 v[18:19], v[106:107], v[18:19]
	;; [unrolled: 1-line block ×3, first 2 shown]
	v_fma_f64 v[14:15], v[213:214], s[30:31], v[20:21]
	v_add_f64 v[8:9], v[8:9], v[10:11]
	v_mul_f64 v[10:11], v[227:228], s[62:63]
	v_fma_f64 v[20:21], v[237:238], s[34:35], v[182:183]
	v_fma_f64 v[182:183], v[174:175], s[8:9], -v[190:191]
	v_add_f64 v[0:1], v[0:1], v[6:7]
	v_add_f64 v[6:7], v[14:15], v[8:9]
	v_mul_f64 v[8:9], v[225:226], s[52:53]
	v_fma_f64 v[14:15], v[209:210], s[36:37], v[10:11]
	v_fma_f64 v[10:11], v[209:210], s[36:37], -v[10:11]
	v_add_f64 v[62:63], v[182:183], v[0:1]
	v_add_f64 v[4:5], v[4:5], v[6:7]
	v_fma_f64 v[6:7], v[215:216], s[34:35], v[8:9]
	v_add_f64 v[14:15], v[14:15], v[18:19]
	v_mul_f64 v[18:19], v[231:232], s[16:17]
	v_fma_f64 v[8:9], v[215:216], s[34:35], -v[8:9]
	v_add_f64 v[4:5], v[12:13], v[4:5]
	v_mul_f64 v[12:13], v[243:244], s[26:27]
	v_add_f64 v[6:7], v[6:7], v[14:15]
	v_fma_f64 v[14:15], v[223:224], s[8:9], v[18:19]
	v_add_f64 v[4:5], v[20:21], v[4:5]
	v_fma_f64 v[20:21], v[235:236], s[22:23], v[12:13]
	v_add_f64 v[6:7], v[14:15], v[6:7]
	v_mul_f64 v[14:15], v[251:252], s[60:61]
	v_add_f64 v[4:5], v[22:23], v[4:5]
	v_mul_f64 v[22:23], v[245:246], s[38:39]
	v_add_f64 v[6:7], v[20:21], v[6:7]
	v_fma_f64 v[20:21], v[241:242], s[10:11], v[14:15]
	v_add_f64 v[60:61], v[2:3], v[4:5]
	v_fma_f64 v[0:1], v[253:254], s[30:31], v[22:23]
	v_mul_f64 v[4:5], v[64:65], s[50:51]
	buffer_store_dword v60, off, s[64:67], 0 offset:520 ; 4-byte Folded Spill
	s_nop 0
	buffer_store_dword v61, off, s[64:67], 0 offset:524 ; 4-byte Folded Spill
	buffer_store_dword v62, off, s[64:67], 0 offset:528 ; 4-byte Folded Spill
	;; [unrolled: 1-line block ×3, first 2 shown]
	v_add_f64 v[2:3], v[20:21], v[6:7]
	v_mul_f64 v[6:7], v[72:73], s[62:63]
	v_mov_b32_e32 v62, v64
	v_mov_b32_e32 v63, v65
	;; [unrolled: 1-line block ×4, first 2 shown]
	v_add_f64 v[0:1], v[0:1], v[2:3]
	v_fma_f64 v[2:3], v[201:202], s[28:29], -v[4:5]
	v_fma_f64 v[20:21], v[207:208], s[36:37], -v[6:7]
	v_fma_f64 v[4:5], v[201:202], s[28:29], v[4:5]
	v_fma_f64 v[6:7], v[207:208], s[36:37], v[6:7]
	v_add_f64 v[2:3], v[104:105], v[2:3]
	v_add_f64 v[4:5], v[104:105], v[4:5]
	;; [unrolled: 1-line block ×3, first 2 shown]
	v_mul_f64 v[20:21], v[198:199], s[52:53]
	v_add_f64 v[4:5], v[6:7], v[4:5]
	v_fma_f64 v[182:183], v[213:214], s[34:35], -v[20:21]
	v_fma_f64 v[6:7], v[213:214], s[34:35], v[20:21]
	v_add_f64 v[2:3], v[182:183], v[2:3]
	v_mul_f64 v[182:183], v[229:230], s[16:17]
	v_add_f64 v[4:5], v[6:7], v[4:5]
	v_fma_f64 v[184:185], v[221:222], s[8:9], -v[182:183]
	v_fma_f64 v[6:7], v[221:222], s[8:9], v[182:183]
	v_mul_f64 v[182:183], v[243:244], s[16:17]
	v_add_f64 v[2:3], v[184:185], v[2:3]
	v_mul_f64 v[184:185], v[239:240], s[26:27]
	v_add_f64 v[4:5], v[6:7], v[4:5]
	v_fma_f64 v[188:189], v[233:234], s[22:23], -v[184:185]
	v_fma_f64 v[6:7], v[233:234], s[22:23], v[184:185]
	v_mul_f64 v[184:185], v[213:214], s[28:29]
	v_add_f64 v[2:3], v[188:189], v[2:3]
	v_mul_f64 v[188:189], v[249:250], s[60:61]
	v_add_f64 v[4:5], v[6:7], v[4:5]
	v_mul_f64 v[6:7], v[217:218], s[20:21]
	v_fma_f64 v[190:191], v[237:238], s[10:11], -v[188:189]
	v_add_f64 v[6:7], v[38:39], -v[6:7]
	v_fma_f64 v[38:39], v[174:175], s[18:19], -v[205:206]
	v_add_f64 v[2:3], v[190:191], v[2:3]
	v_mul_f64 v[190:191], v[176:177], s[38:39]
	v_add_f64 v[6:7], v[106:107], v[6:7]
	v_fma_f64 v[196:197], v[247:248], s[30:31], -v[190:191]
	v_add_f64 v[2:3], v[196:197], v[2:3]
	v_fma_f64 v[196:197], v[174:175], s[18:19], v[205:206]
	v_add_f64 v[194:195], v[196:197], v[0:1]
	v_mul_f64 v[0:1], v[180:181], s[24:25]
	v_fma_f64 v[196:197], v[172:173], s[18:19], -v[0:1]
	v_fma_f64 v[0:1], v[172:173], s[18:19], v[0:1]
	v_add_f64 v[192:193], v[196:197], v[2:3]
	v_fma_f64 v[2:3], v[203:204], s[28:29], -v[16:17]
	buffer_store_dword v192, off, s[64:67], 0 offset:536 ; 4-byte Folded Spill
	s_nop 0
	buffer_store_dword v193, off, s[64:67], 0 offset:540 ; 4-byte Folded Spill
	buffer_store_dword v194, off, s[64:67], 0 offset:544 ; 4-byte Folded Spill
	;; [unrolled: 1-line block ×3, first 2 shown]
	v_add_f64 v[2:3], v[106:107], v[2:3]
	v_mul_f64 v[16:17], v[201:202], s[8:9]
	v_mov_b32_e32 v197, v155
	v_mov_b32_e32 v196, v154
	;; [unrolled: 1-line block ×6, first 2 shown]
	v_add_f64 v[2:3], v[10:11], v[2:3]
	v_fma_f64 v[10:11], v[237:238], s[10:11], v[188:189]
	v_mul_f64 v[188:189], v[227:228], s[24:25]
	v_mov_b32_e32 v153, v99
	v_mov_b32_e32 v152, v98
	;; [unrolled: 1-line block ×5, first 2 shown]
	v_add_f64 v[2:3], v[8:9], v[2:3]
	v_fma_f64 v[8:9], v[223:224], s[8:9], -v[18:19]
	buffer_load_dword v18, off, s[64:67], 0 offset:504 ; 4-byte Folded Reload
	buffer_load_dword v19, off, s[64:67], 0 offset:508 ; 4-byte Folded Reload
	;; [unrolled: 1-line block ×4, first 2 shown]
	v_add_f64 v[4:5], v[10:11], v[4:5]
	v_mul_f64 v[10:11], v[225:226], s[44:45]
	v_mov_b32_e32 v100, v94
	v_mov_b32_e32 v99, v93
	;; [unrolled: 1-line block ×3, first 2 shown]
	v_add_f64 v[2:3], v[8:9], v[2:3]
	v_fma_f64 v[8:9], v[235:236], s[22:23], -v[12:13]
	v_fma_f64 v[12:13], v[253:254], s[30:31], -v[22:23]
	v_mul_f64 v[22:23], v[217:218], s[16:17]
	v_mov_b32_e32 v97, v91
	v_mov_b32_e32 v96, v90
	;; [unrolled: 1-line block ×5, first 2 shown]
	v_add_f64 v[2:3], v[8:9], v[2:3]
	v_fma_f64 v[8:9], v[241:242], s[10:11], -v[14:15]
	v_fma_f64 v[14:15], v[247:248], s[30:31], v[190:191]
	v_mul_f64 v[190:191], v[221:222], s[30:31]
	v_mov_b32_e32 v92, v86
	v_mov_b32_e32 v91, v85
	;; [unrolled: 1-line block ×5, first 2 shown]
	v_add_f64 v[2:3], v[8:9], v[2:3]
	v_mul_f64 v[8:9], v[227:228], s[26:27]
	v_add_f64 v[4:5], v[14:15], v[4:5]
	v_mul_f64 v[14:15], v[231:232], s[46:47]
	v_mov_b32_e32 v87, v81
	v_mov_b32_e32 v86, v80
	;; [unrolled: 1-line block ×4, first 2 shown]
	v_add_f64 v[2:3], v[12:13], v[2:3]
	v_mul_f64 v[12:13], v[201:202], s[10:11]
	v_mov_b32_e32 v83, v77
	v_mov_b32_e32 v82, v76
	;; [unrolled: 1-line block ×7, first 2 shown]
	v_add_f64 v[12:13], v[12:13], v[28:29]
	buffer_load_dword v28, off, s[64:67], 0 offset:256 ; 4-byte Folded Reload
	buffer_load_dword v29, off, s[64:67], 0 offset:260 ; 4-byte Folded Reload
	v_mov_b32_e32 v76, v68
	v_mov_b32_e32 v71, v43
	;; [unrolled: 1-line block ×5, first 2 shown]
	v_mul_f64 v[40:41], v[229:230], s[26:27]
	v_add_f64 v[12:13], v[104:105], v[12:13]
	v_mov_b32_e32 v193, v63
	v_mov_b32_e32 v192, v62
	;; [unrolled: 1-line block ×6, first 2 shown]
	v_mul_f64 v[50:51], v[64:65], s[58:59]
	s_waitcnt vmcnt(4)
	v_add_f64 v[8:9], v[18:19], -v[8:9]
	v_mul_f64 v[18:19], v[245:246], s[56:57]
	s_waitcnt vmcnt(2)
	v_add_f64 v[10:11], v[20:21], -v[10:11]
	v_mul_f64 v[20:21], v[207:208], s[22:23]
	v_add_f64 v[6:7], v[8:9], v[6:7]
	v_mul_f64 v[8:9], v[207:208], s[18:19]
	v_add_f64 v[20:21], v[20:21], v[34:35]
	v_add_f64 v[6:7], v[10:11], v[6:7]
	v_mul_f64 v[10:11], v[251:252], s[42:43]
	v_add_f64 v[12:13], v[20:21], v[12:13]
	v_mul_f64 v[20:21], v[225:226], s[48:49]
	v_add_f64 v[20:21], v[36:37], -v[20:21]
	v_mul_f64 v[36:37], v[172:173], s[36:37]
	s_waitcnt vmcnt(0)
	v_add_f64 v[18:19], v[28:29], -v[18:19]
	buffer_load_dword v28, off, s[64:67], 0 offset:456 ; 4-byte Folded Reload
	buffer_load_dword v29, off, s[64:67], 0 offset:460 ; 4-byte Folded Reload
	s_waitcnt vmcnt(0)
	v_add_f64 v[14:15], v[28:29], -v[14:15]
	buffer_load_dword v28, off, s[64:67], 0 offset:8 ; 4-byte Folded Reload
	buffer_load_dword v29, off, s[64:67], 0 offset:12 ; 4-byte Folded Reload
	v_add_f64 v[6:7], v[14:15], v[6:7]
	v_mul_f64 v[14:15], v[221:222], s[28:29]
	s_waitcnt vmcnt(0)
	v_add_f64 v[182:183], v[28:29], -v[182:183]
	buffer_load_dword v28, off, s[64:67], 0 offset:448 ; 4-byte Folded Reload
	buffer_load_dword v29, off, s[64:67], 0 offset:452 ; 4-byte Folded Reload
	v_add_f64 v[6:7], v[182:183], v[6:7]
	s_waitcnt vmcnt(0)
	v_add_f64 v[184:185], v[184:185], v[28:29]
	buffer_load_dword v28, off, s[64:67], 0 offset:240 ; 4-byte Folded Reload
	buffer_load_dword v29, off, s[64:67], 0 offset:244 ; 4-byte Folded Reload
	v_add_f64 v[12:13], v[184:185], v[12:13]
	v_mul_f64 v[184:185], v[237:238], s[36:37]
	s_waitcnt vmcnt(0)
	v_add_f64 v[10:11], v[28:29], -v[10:11]
	buffer_load_dword v28, off, s[64:67], 0 offset:416 ; 4-byte Folded Reload
	buffer_load_dword v29, off, s[64:67], 0 offset:420 ; 4-byte Folded Reload
	s_nop 0
	buffer_store_dword v160, off, s[64:67], 0 offset:8 ; 4-byte Folded Spill
	s_nop 0
	buffer_store_dword v161, off, s[64:67], 0 offset:12 ; 4-byte Folded Spill
	buffer_store_dword v162, off, s[64:67], 0 offset:16 ; 4-byte Folded Spill
	;; [unrolled: 1-line block ×3, first 2 shown]
	buffer_load_dword v30, off, s[64:67], 0 offset:408 ; 4-byte Folded Reload
	buffer_load_dword v31, off, s[64:67], 0 offset:412 ; 4-byte Folded Reload
	;; [unrolled: 1-line block ×4, first 2 shown]
	v_mov_b32_e32 v163, v59
	v_mov_b32_e32 v162, v58
	;; [unrolled: 1-line block ×3, first 2 shown]
	v_add_f64 v[6:7], v[10:11], v[6:7]
	v_add_f64 v[10:11], v[32:33], -v[188:189]
	buffer_load_dword v32, off, s[64:67], 0 offset:216 ; 4-byte Folded Reload
	buffer_load_dword v33, off, s[64:67], 0 offset:220 ; 4-byte Folded Reload
	;; [unrolled: 1-line block ×4, first 2 shown]
	v_mov_b32_e32 v160, v56
	v_mov_b32_e32 v59, v55
	;; [unrolled: 1-line block ×4, first 2 shown]
	v_add_f64 v[6:7], v[18:19], v[6:7]
	v_mov_b32_e32 v56, v52
	v_mov_b32_e32 v55, v27
	;; [unrolled: 1-line block ×5, first 2 shown]
	v_mul_f64 v[24:25], v[231:232], s[44:45]
	v_mul_f64 v[18:19], v[172:173], s[34:35]
	;; [unrolled: 1-line block ×4, first 2 shown]
	s_waitcnt vmcnt(12)
	v_add_f64 v[190:191], v[190:191], v[28:29]
	v_mul_f64 v[28:29], v[243:244], s[52:53]
	s_waitcnt vmcnt(6)
	v_add_f64 v[22:23], v[30:31], -v[22:23]
	s_waitcnt vmcnt(4)
	v_add_f64 v[182:183], v[219:220], v[34:35]
	v_mul_f64 v[34:35], v[247:248], s[18:19]
	v_mul_f64 v[30:31], v[237:238], s[30:31]
	;; [unrolled: 1-line block ×3, first 2 shown]
	v_add_f64 v[12:13], v[190:191], v[12:13]
	s_waitcnt vmcnt(2)
	v_add_f64 v[184:185], v[184:185], v[32:33]
	v_add_f64 v[22:23], v[106:107], v[22:23]
	v_mul_f64 v[32:33], v[178:179], s[52:53]
	v_mul_f64 v[190:191], v[251:252], s[38:39]
	v_add_f64 v[30:31], v[30:31], v[66:67]
	v_add_f64 v[12:13], v[182:183], v[12:13]
	;; [unrolled: 1-line block ×4, first 2 shown]
	s_waitcnt vmcnt(0)
	v_add_f64 v[32:33], v[60:61], -v[32:33]
	buffer_load_dword v60, off, s[64:67], 0 offset:440 ; 4-byte Folded Reload
	buffer_load_dword v61, off, s[64:67], 0 offset:444 ; 4-byte Folded Reload
	v_mul_f64 v[22:23], v[178:179], s[42:43]
	v_add_f64 v[12:13], v[184:185], v[12:13]
	v_add_f64 v[184:185], v[38:39], v[2:3]
	;; [unrolled: 1-line block ×3, first 2 shown]
	buffer_load_dword v10, off, s[64:67], 0 offset:232 ; 4-byte Folded Reload
	buffer_load_dword v11, off, s[64:67], 0 offset:236 ; 4-byte Folded Reload
	buffer_load_dword v0, off, s[64:67], 0 offset:368 ; 4-byte Folded Reload
	buffer_load_dword v1, off, s[64:67], 0 offset:372 ; 4-byte Folded Reload
	v_mul_f64 v[2:3], v[217:218], s[58:59]
	v_mul_f64 v[38:39], v[64:65], s[20:21]
	v_fma_f64 v[205:206], v[207:208], s[10:11], -v[38:39]
	s_waitcnt vmcnt(4)
	v_add_f64 v[24:25], v[60:61], -v[24:25]
	s_waitcnt vmcnt(2)
	v_add_f64 v[34:35], v[34:35], v[10:11]
	v_add_f64 v[10:11], v[32:33], v[6:7]
	buffer_load_dword v6, off, s[64:67], 0 offset:336 ; 4-byte Folded Reload
	buffer_load_dword v7, off, s[64:67], 0 offset:340 ; 4-byte Folded Reload
	v_add_f64 v[4:5], v[24:25], v[20:21]
	s_waitcnt vmcnt(2)
	v_add_f64 v[0:1], v[0:1], -v[28:29]
	v_fma_f64 v[24:25], v[203:204], s[34:35], v[2:3]
	v_mul_f64 v[32:33], v[225:226], s[24:25]
	v_fma_f64 v[2:3], v[203:204], s[34:35], -v[2:3]
	v_add_f64 v[12:13], v[34:35], v[12:13]
	v_add_f64 v[0:1], v[0:1], v[4:5]
	;; [unrolled: 1-line block ×4, first 2 shown]
	s_waitcnt vmcnt(0)
	v_add_f64 v[6:7], v[18:19], v[6:7]
	buffer_load_dword v18, off, s[64:67], 0 offset:224 ; 4-byte Folded Reload
	buffer_load_dword v19, off, s[64:67], 0 offset:228 ; 4-byte Folded Reload
	;; [unrolled: 1-line block ×4, first 2 shown]
	s_waitcnt vmcnt(2)
	v_add_f64 v[18:19], v[18:19], -v[22:23]
	s_waitcnt vmcnt(0)
	v_add_f64 v[16:17], v[16:17], v[20:21]
	buffer_load_dword v20, off, s[64:67], 0 offset:360 ; 4-byte Folded Reload
	buffer_load_dword v21, off, s[64:67], 0 offset:364 ; 4-byte Folded Reload
	v_mul_f64 v[22:23], v[227:228], s[20:21]
	buffer_load_dword v4, off, s[64:67], 0 offset:400 ; 4-byte Folded Reload
	buffer_load_dword v5, off, s[64:67], 0 offset:404 ; 4-byte Folded Reload
	;; [unrolled: 1-line block ×4, first 2 shown]
	v_add_f64 v[16:17], v[104:105], v[16:17]
	v_fma_f64 v[34:35], v[209:210], s[10:11], v[22:23]
	v_add_f64 v[24:25], v[34:35], v[24:25]
	s_waitcnt vmcnt(4)
	v_add_f64 v[20:21], v[20:21], -v[190:191]
	v_fma_f64 v[190:191], v[215:216], s[18:19], v[32:33]
	s_waitcnt vmcnt(2)
	v_add_f64 v[4:5], v[4:5], -v[188:189]
	s_waitcnt vmcnt(0)
	v_add_f64 v[8:9], v[8:9], v[28:29]
	v_mul_f64 v[28:29], v[62:63], s[58:59]
	v_add_f64 v[0:1], v[20:21], v[0:1]
	buffer_load_dword v20, off, s[64:67], 0 offset:376 ; 4-byte Folded Reload
	buffer_load_dword v21, off, s[64:67], 0 offset:380 ; 4-byte Folded Reload
	;; [unrolled: 1-line block ×6, first 2 shown]
	v_fma_f64 v[188:189], v[201:202], s[34:35], -v[28:29]
	v_add_f64 v[8:9], v[8:9], v[16:17]
	v_mul_f64 v[16:17], v[231:232], s[26:27]
	v_add_f64 v[24:25], v[190:191], v[24:25]
	v_fma_f64 v[190:191], v[221:222], s[22:23], -v[40:41]
	v_add_f64 v[0:1], v[4:5], v[0:1]
	v_mul_f64 v[4:5], v[176:177], s[54:55]
	v_add_f64 v[188:189], v[104:105], v[188:189]
	v_fma_f64 v[48:49], v[247:248], s[8:9], -v[4:5]
	v_fma_f64 v[4:5], v[247:248], s[8:9], v[4:5]
	v_add_f64 v[188:189], v[205:206], v[188:189]
	v_mul_f64 v[205:206], v[251:252], s[44:45]
	s_waitcnt vmcnt(4)
	v_add_f64 v[20:21], v[211:212], v[20:21]
	s_waitcnt vmcnt(2)
	v_add_f64 v[14:15], v[14:15], v[34:35]
	v_mul_f64 v[34:35], v[198:199], s[24:25]
	v_fma_f64 v[211:212], v[223:224], s[22:23], v[16:17]
	s_waitcnt vmcnt(0)
	v_add_f64 v[26:27], v[26:27], v[60:61]
	v_mov_b32_e32 v63, v47
	v_mov_b32_e32 v62, v46
	;; [unrolled: 1-line block ×3, first 2 shown]
	v_add_f64 v[8:9], v[20:21], v[8:9]
	v_mul_f64 v[20:21], v[243:244], s[62:63]
	v_fma_f64 v[42:43], v[213:214], s[18:19], -v[34:35]
	v_add_f64 v[24:25], v[211:212], v[24:25]
	v_mul_f64 v[211:212], v[239:240], s[62:63]
	v_mov_b32_e32 v60, v44
	v_fma_f64 v[16:17], v[223:224], s[22:23], -v[16:17]
	v_add_f64 v[8:9], v[14:15], v[8:9]
	v_fma_f64 v[14:15], v[235:236], s[36:37], v[20:21]
	v_add_f64 v[42:43], v[42:43], v[188:189]
	v_fma_f64 v[188:189], v[241:242], s[28:29], v[205:206]
	v_fma_f64 v[44:45], v[233:234], s[36:37], -v[211:212]
	v_fma_f64 v[20:21], v[235:236], s[36:37], -v[20:21]
	v_add_f64 v[8:9], v[26:27], v[8:9]
	v_add_f64 v[14:15], v[14:15], v[24:25]
	buffer_load_dword v24, off, s[64:67], 0 offset:320 ; 4-byte Folded Reload
	buffer_load_dword v25, off, s[64:67], 0 offset:324 ; 4-byte Folded Reload
	v_add_f64 v[42:43], v[190:191], v[42:43]
	v_mul_f64 v[26:27], v[245:246], s[54:55]
	v_add_f64 v[190:191], v[18:19], v[0:1]
	v_fma_f64 v[0:1], v[209:210], s[10:11], -v[22:23]
	v_fma_f64 v[22:23], v[201:202], s[34:35], v[28:29]
	v_add_f64 v[8:9], v[30:31], v[8:9]
	v_add_f64 v[14:15], v[188:189], v[14:15]
	v_mul_f64 v[30:31], v[178:179], s[46:47]
	v_add_f64 v[42:43], v[44:45], v[42:43]
	buffer_load_dword v44, off, s[64:67], 0 offset:328 ; 4-byte Folded Reload
	buffer_load_dword v45, off, s[64:67], 0 offset:332 ; 4-byte Folded Reload
	v_fma_f64 v[46:47], v[253:254], s[8:9], v[26:27]
	v_add_f64 v[0:1], v[0:1], v[2:3]
	v_mul_f64 v[28:29], v[217:218], s[38:39]
	v_fma_f64 v[2:3], v[241:242], s[28:29], -v[205:206]
	v_add_f64 v[22:23], v[104:105], v[22:23]
	v_fma_f64 v[18:19], v[174:175], s[30:31], -v[30:31]
	v_add_f64 v[14:15], v[46:47], v[14:15]
	v_mul_f64 v[46:47], v[180:181], s[46:47]
	s_waitcnt vmcnt(2)
	v_add_f64 v[24:25], v[219:220], v[24:25]
	v_mul_f64 v[219:220], v[249:250], s[44:45]
	v_add_f64 v[24:25], v[24:25], v[8:9]
	v_fma_f64 v[188:189], v[237:238], s[28:29], -v[219:220]
	s_waitcnt vmcnt(0)
	v_add_f64 v[36:37], v[36:37], v[44:45]
	v_fma_f64 v[44:45], v[174:175], s[30:31], v[30:31]
	v_fma_f64 v[30:31], v[207:208], s[10:11], v[38:39]
	v_add_f64 v[38:39], v[104:105], v[108:109]
	v_add_f64 v[8:9], v[6:7], v[12:13]
	v_fma_f64 v[6:7], v[172:173], s[30:31], -v[46:47]
	v_add_f64 v[42:43], v[188:189], v[42:43]
	v_add_f64 v[188:189], v[36:37], v[24:25]
	v_fma_f64 v[24:25], v[253:254], s[8:9], -v[26:27]
	v_fma_f64 v[26:27], v[215:216], s[18:19], -v[32:33]
	v_add_f64 v[38:39], v[38:39], v[112:113]
	v_mul_f64 v[32:33], v[227:228], s[58:59]
	v_fma_f64 v[36:37], v[203:204], s[30:31], v[28:29]
	v_add_f64 v[22:23], v[30:31], v[22:23]
	v_add_f64 v[12:13], v[48:49], v[42:43]
	v_mul_f64 v[30:31], v[225:226], s[16:17]
	v_fma_f64 v[28:29], v[203:204], s[30:31], -v[28:29]
	v_add_f64 v[0:1], v[26:27], v[0:1]
	v_fma_f64 v[26:27], v[213:214], s[18:19], v[34:35]
	v_add_f64 v[34:35], v[106:107], v[110:111]
	v_add_f64 v[38:39], v[38:39], v[116:117]
	v_fma_f64 v[42:43], v[209:210], s[34:35], v[32:33]
	v_add_f64 v[36:37], v[106:107], v[36:37]
	v_fma_f64 v[32:33], v[209:210], s[34:35], -v[32:33]
	v_add_f64 v[28:29], v[106:107], v[28:29]
	v_add_f64 v[0:1], v[16:17], v[0:1]
	v_fma_f64 v[16:17], v[221:222], s[22:23], v[40:41]
	v_add_f64 v[34:35], v[34:35], v[114:115]
	v_add_f64 v[38:39], v[38:39], v[120:121]
	;; [unrolled: 1-line block ×3, first 2 shown]
	v_mul_f64 v[26:27], v[231:232], s[20:21]
	v_fma_f64 v[40:41], v[215:216], s[8:9], v[30:31]
	v_add_f64 v[36:37], v[42:43], v[36:37]
	v_add_f64 v[0:1], v[20:21], v[0:1]
	v_mul_f64 v[112:113], v[198:199], s[16:17]
	v_add_f64 v[34:35], v[34:35], v[118:119]
	v_fma_f64 v[106:107], v[207:208], s[34:35], v[50:51]
	v_fma_f64 v[50:51], v[207:208], s[34:35], -v[50:51]
	v_fma_f64 v[42:43], v[223:224], s[10:11], v[26:27]
	v_fma_f64 v[30:31], v[215:216], s[8:9], -v[30:31]
	v_add_f64 v[36:37], v[40:41], v[36:37]
	v_add_f64 v[0:1], v[2:3], v[0:1]
	;; [unrolled: 1-line block ×4, first 2 shown]
	v_fma_f64 v[20:21], v[233:234], s[36:37], v[211:212]
	v_add_f64 v[16:17], v[16:17], v[22:23]
	v_mul_f64 v[22:23], v[243:244], s[50:51]
	v_mul_f64 v[48:49], v[229:230], s[20:21]
	v_add_f64 v[36:37], v[42:43], v[36:37]
	v_add_f64 v[0:1], v[24:25], v[0:1]
	v_mul_f64 v[42:43], v[192:193], s[38:39]
	v_add_f64 v[24:25], v[34:35], v[126:127]
	v_add_f64 v[34:35], v[38:39], v[124:125]
	v_fma_f64 v[32:33], v[213:214], s[8:9], v[112:113]
	v_fma_f64 v[26:27], v[223:224], s[10:11], -v[26:27]
	v_add_f64 v[28:29], v[30:31], v[28:29]
	v_fma_f64 v[2:3], v[237:238], s[28:29], v[219:220]
	v_add_f64 v[108:109], v[18:19], v[0:1]
	v_fma_f64 v[110:111], v[201:202], s[30:31], v[42:43]
	v_add_f64 v[18:19], v[24:25], v[130:131]
	v_add_f64 v[24:25], v[34:35], v[128:129]
	v_fma_f64 v[42:43], v[201:202], s[30:31], -v[42:43]
	v_add_f64 v[16:17], v[20:21], v[16:17]
	v_mul_f64 v[20:21], v[251:252], s[24:25]
	v_fma_f64 v[40:41], v[235:236], s[28:29], v[22:23]
	v_fma_f64 v[0:1], v[172:173], s[30:31], v[46:47]
	v_add_f64 v[110:111], v[104:105], v[110:111]
	v_add_f64 v[18:19], v[18:19], v[138:139]
	;; [unrolled: 1-line block ×4, first 2 shown]
	v_mul_f64 v[46:47], v[239:240], s[50:51]
	v_fma_f64 v[30:31], v[221:222], s[10:11], v[48:49]
	v_fma_f64 v[48:49], v[221:222], s[10:11], -v[48:49]
	v_fma_f64 v[22:23], v[235:236], s[28:29], -v[22:23]
	v_add_f64 v[104:105], v[106:107], v[110:111]
	v_add_f64 v[18:19], v[18:19], v[142:143]
	;; [unrolled: 1-line block ×3, first 2 shown]
	v_fma_f64 v[106:107], v[213:214], s[8:9], -v[112:113]
	v_add_f64 v[42:43], v[50:51], v[42:43]
	v_add_f64 v[26:27], v[26:27], v[28:29]
	;; [unrolled: 1-line block ×7, first 2 shown]
	v_mul_f64 v[16:17], v[245:246], s[42:43]
	v_add_f64 v[42:43], v[106:107], v[42:43]
	v_fma_f64 v[38:39], v[241:242], s[18:19], v[20:21]
	v_mul_f64 v[44:45], v[249:250], s[24:25]
	v_fma_f64 v[28:29], v[233:234], s[28:29], v[46:47]
	v_add_f64 v[30:31], v[30:31], v[32:33]
	v_add_f64 v[18:19], v[18:19], v[146:147]
	;; [unrolled: 1-line block ×3, first 2 shown]
	v_fma_f64 v[32:33], v[233:234], s[28:29], -v[46:47]
	v_add_f64 v[42:43], v[48:49], v[42:43]
	v_fma_f64 v[20:21], v[241:242], s[18:19], -v[20:21]
	v_add_f64 v[22:23], v[22:23], v[26:27]
	v_add_f64 v[36:37], v[40:41], v[36:37]
	;; [unrolled: 1-line block ×5, first 2 shown]
	v_mul_f64 v[2:3], v[178:179], s[26:27]
	v_fma_f64 v[4:5], v[253:254], s[36:37], v[16:17]
	v_mul_f64 v[40:41], v[176:177], s[42:43]
	v_fma_f64 v[26:27], v[237:238], s[18:19], v[44:45]
	v_add_f64 v[28:29], v[28:29], v[30:31]
	v_fma_f64 v[30:31], v[237:238], s[18:19], -v[44:45]
	v_add_f64 v[18:19], v[18:19], v[158:159]
	v_add_f64 v[24:25], v[24:25], v[156:157]
	v_add_f64 v[32:33], v[32:33], v[42:43]
	v_fma_f64 v[16:17], v[253:254], s[36:37], -v[16:17]
	v_add_f64 v[20:21], v[20:21], v[22:23]
	v_add_f64 v[36:37], v[38:39], v[36:37]
	;; [unrolled: 4-line block ×4, first 2 shown]
	v_add_f64 v[106:107], v[0:1], v[34:35]
	v_add_f64 v[12:13], v[6:7], v[12:13]
	;; [unrolled: 1-line block ×5, first 2 shown]
	v_mul_f64 v[38:39], v[180:181], s[26:27]
	v_add_f64 v[4:5], v[32:33], v[16:17]
	v_fma_f64 v[22:23], v[247:248], s[36:37], v[40:41]
	v_mov_b32_e32 v40, v68
	v_mov_b32_e32 v48, v72
	v_add_f64 v[18:19], v[18:19], v[54:55]
	v_add_f64 v[24:25], v[24:25], v[52:53]
	v_mov_b32_e32 v52, v56
	v_mov_b32_e32 v53, v57
	;; [unrolled: 1-line block ×8, first 2 shown]
	buffer_load_dword v160, off, s[64:67], 0 offset:8 ; 4-byte Folded Reload
	buffer_load_dword v161, off, s[64:67], 0 offset:12 ; 4-byte Folded Reload
	;; [unrolled: 1-line block ×10, first 2 shown]
	v_fma_f64 v[20:21], v[172:173], s[22:23], v[38:39]
	v_add_f64 v[22:23], v[22:23], v[26:27]
	v_fma_f64 v[26:27], v[174:175], s[22:23], v[2:3]
	v_fma_f64 v[38:39], v[172:173], s[22:23], -v[38:39]
	v_mov_b32_e32 v41, v69
	v_mov_b32_e32 v42, v70
	;; [unrolled: 1-line block ×5, first 2 shown]
	v_add_f64 v[2:3], v[20:21], v[22:23]
	v_mov_b32_e32 v50, v74
	v_mov_b32_e32 v51, v75
	;; [unrolled: 1-line block ×26, first 2 shown]
	v_add_f64 v[116:117], v[26:27], v[36:37]
	v_add_f64 v[114:115], v[38:39], v[28:29]
	v_mov_b32_e32 v95, v101
	v_mov_b32_e32 v96, v102
	;; [unrolled: 1-line block ×15, first 2 shown]
	s_waitcnt vmcnt(2)
	v_add_f64 v[112:113], v[18:19], v[32:33]
	v_add_f64 v[110:111], v[24:25], v[30:31]
	s_waitcnt vmcnt(1)
	v_mul_lo_u16_e32 v0, 17, v1
	s_waitcnt vmcnt(0)
	v_lshl_add_u32 v0, v0, 4, v6
	ds_write_b128 v0, v[110:113]
	ds_write_b128 v0, v[2:5] offset:16
	ds_write_b128 v0, v[106:109] offset:32
	;; [unrolled: 1-line block ×5, first 2 shown]
	v_lshlrev_b32_e32 v182, 4, v1
	buffer_load_dword v1, off, s[64:67], 0 offset:520 ; 4-byte Folded Reload
	buffer_load_dword v2, off, s[64:67], 0 offset:524 ; 4-byte Folded Reload
	buffer_load_dword v3, off, s[64:67], 0 offset:528 ; 4-byte Folded Reload
	buffer_load_dword v4, off, s[64:67], 0 offset:532 ; 4-byte Folded Reload
	s_waitcnt vmcnt(0)
	ds_write_b128 v0, v[1:4] offset:96
	buffer_load_dword v1, off, s[64:67], 0 offset:424 ; 4-byte Folded Reload
	buffer_load_dword v2, off, s[64:67], 0 offset:428 ; 4-byte Folded Reload
	buffer_load_dword v3, off, s[64:67], 0 offset:432 ; 4-byte Folded Reload
	buffer_load_dword v4, off, s[64:67], 0 offset:436 ; 4-byte Folded Reload
	s_waitcnt vmcnt(0)
	ds_write_b128 v0, v[1:4] offset:112
	buffer_load_dword v1, off, s[64:67], 0 offset:304 ; 4-byte Folded Reload
	buffer_load_dword v2, off, s[64:67], 0 offset:308 ; 4-byte Folded Reload
	buffer_load_dword v3, off, s[64:67], 0 offset:312 ; 4-byte Folded Reload
	buffer_load_dword v4, off, s[64:67], 0 offset:316 ; 4-byte Folded Reload
	s_waitcnt vmcnt(0)
	ds_write_b128 v0, v[1:4] offset:128
	buffer_load_dword v1, off, s[64:67], 0 offset:288 ; 4-byte Folded Reload
	buffer_load_dword v2, off, s[64:67], 0 offset:292 ; 4-byte Folded Reload
	buffer_load_dword v3, off, s[64:67], 0 offset:296 ; 4-byte Folded Reload
	buffer_load_dword v4, off, s[64:67], 0 offset:300 ; 4-byte Folded Reload
	s_waitcnt vmcnt(0)
	ds_write_b128 v0, v[1:4] offset:144
	buffer_load_dword v1, off, s[64:67], 0 offset:384 ; 4-byte Folded Reload
	buffer_load_dword v2, off, s[64:67], 0 offset:388 ; 4-byte Folded Reload
	buffer_load_dword v3, off, s[64:67], 0 offset:392 ; 4-byte Folded Reload
	buffer_load_dword v4, off, s[64:67], 0 offset:396 ; 4-byte Folded Reload
	s_waitcnt vmcnt(0)
	ds_write_b128 v0, v[1:4] offset:160
	buffer_load_dword v1, off, s[64:67], 0 offset:464 ; 4-byte Folded Reload
	buffer_load_dword v2, off, s[64:67], 0 offset:468 ; 4-byte Folded Reload
	buffer_load_dword v3, off, s[64:67], 0 offset:472 ; 4-byte Folded Reload
	buffer_load_dword v4, off, s[64:67], 0 offset:476 ; 4-byte Folded Reload
	s_waitcnt vmcnt(0)
	ds_write_b128 v0, v[1:4] offset:176
	buffer_load_dword v1, off, s[64:67], 0 offset:536 ; 4-byte Folded Reload
	buffer_load_dword v2, off, s[64:67], 0 offset:540 ; 4-byte Folded Reload
	buffer_load_dword v3, off, s[64:67], 0 offset:544 ; 4-byte Folded Reload
	buffer_load_dword v4, off, s[64:67], 0 offset:548 ; 4-byte Folded Reload
	s_waitcnt vmcnt(0)
	ds_write_b128 v0, v[1:4] offset:192
	ds_write_b128 v0, v[160:163] offset:208
	ds_write_b128 v0, v[194:197] offset:224
	;; [unrolled: 1-line block ×4, first 2 shown]
.LBB0_17:
	s_or_b64 exec, exec, s[40:41]
	s_waitcnt lgkmcnt(0)
	s_barrier
	ds_read_b128 v[0:3], v186 offset:1360
	ds_read_b128 v[4:7], v186 offset:2720
	ds_read_b128 v[8:11], v186
	ds_read_b128 v[12:15], v186 offset:4080
	buffer_load_dword v28, off, s[64:67], 0 offset:120 ; 4-byte Folded Reload
	buffer_load_dword v29, off, s[64:67], 0 offset:124 ; 4-byte Folded Reload
	;; [unrolled: 1-line block ×4, first 2 shown]
	s_mov_b32 s8, 0xe00740e9
	s_mov_b32 s9, 0x3fec55a7
	s_waitcnt lgkmcnt(3)
	v_mul_f64 v[16:17], v[70:71], v[2:3]
	v_mul_f64 v[18:19], v[70:71], v[0:1]
	s_waitcnt lgkmcnt(0)
	v_mul_f64 v[24:25], v[42:43], v[14:15]
	v_mul_f64 v[26:27], v[42:43], v[12:13]
	s_mov_b32 s16, 0x4267c47c
	s_mov_b32 s17, 0xbfddbe06
	;; [unrolled: 1-line block ×4, first 2 shown]
	v_fma_f64 v[16:17], v[68:69], v[0:1], v[16:17]
	v_fma_f64 v[18:19], v[68:69], v[2:3], -v[18:19]
	ds_read_b128 v[0:3], v186 offset:5440
	ds_read_b128 v[66:69], v186 offset:6800
	v_fma_f64 v[38:39], v[40:41], v[12:13], v[24:25]
	v_fma_f64 v[40:41], v[40:41], v[14:15], -v[26:27]
	s_mov_b32 s24, 0x1ea71119
	s_waitcnt lgkmcnt(1)
	v_mul_f64 v[32:33], v[46:47], v[2:3]
	v_mul_f64 v[34:35], v[46:47], v[0:1]
	s_mov_b32 s18, 0xebaa3ed8
	s_mov_b32 s34, 0xb2365da1
	;; [unrolled: 1-line block ×6, first 2 shown]
	v_fma_f64 v[42:43], v[44:45], v[0:1], v[32:33]
	v_fma_f64 v[34:35], v[44:45], v[2:3], -v[34:35]
	s_mov_b32 s19, 0x3fbedb7d
	s_mov_b32 s35, 0xbfd6b1d8
	;; [unrolled: 1-line block ×23, first 2 shown]
	s_waitcnt vmcnt(0)
	v_mul_f64 v[20:21], v[30:31], v[6:7]
	v_mul_f64 v[22:23], v[30:31], v[4:5]
	v_add_f64 v[30:31], v[10:11], v[18:19]
	v_fma_f64 v[20:21], v[28:29], v[4:5], v[20:21]
	v_fma_f64 v[22:23], v[28:29], v[6:7], -v[22:23]
	ds_read_b128 v[4:7], v186 offset:8160
	ds_read_b128 v[104:107], v186 offset:9520
	;; [unrolled: 1-line block ×4, first 2 shown]
	buffer_load_dword v60, off, s[64:67], 0 offset:104 ; 4-byte Folded Reload
	buffer_load_dword v61, off, s[64:67], 0 offset:108 ; 4-byte Folded Reload
	;; [unrolled: 1-line block ×4, first 2 shown]
	v_add_f64 v[28:29], v[8:9], v[16:17]
	s_waitcnt lgkmcnt(2)
	v_mul_f64 v[44:45], v[58:59], v[106:107]
	v_mul_f64 v[46:47], v[58:59], v[104:105]
	v_add_f64 v[26:27], v[30:31], v[22:23]
	v_add_f64 v[24:25], v[28:29], v[20:21]
	;; [unrolled: 1-line block ×3, first 2 shown]
	v_mul_f64 v[26:27], v[50:51], v[4:5]
	v_add_f64 v[0:1], v[24:25], v[38:39]
	v_mul_f64 v[24:25], v[50:51], v[6:7]
	v_add_f64 v[32:33], v[2:3], v[34:35]
	v_fma_f64 v[2:3], v[48:49], v[6:7], -v[26:27]
	v_fma_f64 v[26:27], v[56:57], v[104:105], v[44:45]
	s_waitcnt vmcnt(0)
	v_mul_f64 v[28:29], v[62:63], v[68:69]
	v_mul_f64 v[36:37], v[62:63], v[66:67]
	ds_read_b128 v[62:65], v186 offset:13600
	ds_read_b128 v[112:115], v186 offset:14960
	;; [unrolled: 1-line block ×3, first 2 shown]
	v_fma_f64 v[30:31], v[60:61], v[66:67], v[28:29]
	v_add_f64 v[28:29], v[0:1], v[42:43]
	v_fma_f64 v[0:1], v[48:49], v[4:5], v[24:25]
	s_waitcnt lgkmcnt(4)
	v_mul_f64 v[24:25], v[54:55], v[14:15]
	v_mul_f64 v[48:49], v[54:55], v[12:13]
	v_fma_f64 v[36:37], v[60:61], v[68:69], -v[36:37]
	v_add_f64 v[4:5], v[28:29], v[30:31]
	v_fma_f64 v[28:29], v[56:57], v[106:107], -v[46:47]
	buffer_load_dword v104, off, s[64:67], 0 offset:88 ; 4-byte Folded Reload
	buffer_load_dword v105, off, s[64:67], 0 offset:92 ; 4-byte Folded Reload
	;; [unrolled: 1-line block ×16, first 2 shown]
	v_add_f64 v[6:7], v[32:33], v[36:37]
	v_fma_f64 v[32:33], v[52:53], v[12:13], v[24:25]
	v_add_f64 v[4:5], v[4:5], v[0:1]
	v_fma_f64 v[24:25], v[52:53], v[14:15], -v[48:49]
	s_waitcnt vmcnt(0) lgkmcnt(0)
	s_barrier
	v_add_f64 v[6:7], v[6:7], v[2:3]
	v_add_f64 v[4:5], v[4:5], v[26:27]
	;; [unrolled: 1-line block ×5, first 2 shown]
	v_mul_f64 v[44:45], v[106:107], v[110:111]
	v_mul_f64 v[50:51], v[56:57], v[116:117]
	;; [unrolled: 1-line block ×7, first 2 shown]
	v_fma_f64 v[44:45], v[104:105], v[108:109], v[44:45]
	v_fma_f64 v[48:49], v[54:55], v[118:119], -v[50:51]
	v_mul_f64 v[50:51], v[68:69], v[114:115]
	v_fma_f64 v[12:13], v[54:55], v[116:117], v[12:13]
	v_fma_f64 v[56:57], v[70:71], v[62:63], v[58:59]
	v_fma_f64 v[46:47], v[104:105], v[110:111], -v[46:47]
	v_fma_f64 v[14:15], v[70:71], v[64:65], -v[14:15]
	;; [unrolled: 1-line block ×3, first 2 shown]
	v_add_f64 v[4:5], v[4:5], v[44:45]
	v_add_f64 v[54:55], v[18:19], -v[48:49]
	v_add_f64 v[18:19], v[18:19], v[48:49]
	v_add_f64 v[58:59], v[16:17], v[12:13]
	v_add_f64 v[16:17], v[16:17], -v[12:13]
	v_fma_f64 v[50:51], v[66:67], v[112:113], v[50:51]
	v_add_f64 v[6:7], v[6:7], v[46:47]
	v_add_f64 v[128:129], v[22:23], v[52:53]
	;; [unrolled: 1-line block ×3, first 2 shown]
	v_mul_f64 v[60:61], v[54:55], s[16:17]
	v_mul_f64 v[62:63], v[18:19], s[8:9]
	v_mul_f64 v[104:105], v[18:19], s[18:19]
	v_mul_f64 v[116:117], v[18:19], s[34:35]
	v_mul_f64 v[118:119], v[54:55], s[38:39]
	v_add_f64 v[6:7], v[6:7], v[14:15]
	v_mul_f64 v[120:121], v[18:19], s[40:41]
	v_add_f64 v[4:5], v[4:5], v[50:51]
	v_add_f64 v[22:23], v[22:23], -v[52:53]
	v_fma_f64 v[66:67], v[16:17], s[30:31], v[62:63]
	v_fma_f64 v[62:63], v[16:17], s[16:17], v[62:63]
	;; [unrolled: 1-line block ×3, first 2 shown]
	v_mul_f64 v[68:69], v[54:55], s[22:23]
	v_add_f64 v[6:7], v[6:7], v[52:53]
	v_mul_f64 v[70:71], v[54:55], s[10:11]
	v_add_f64 v[4:5], v[4:5], v[12:13]
	v_fma_f64 v[110:111], v[16:17], s[20:21], v[104:105]
	v_mul_f64 v[112:113], v[54:55], s[28:29]
	v_add_f64 v[12:13], v[10:11], v[62:63]
	v_mul_f64 v[62:63], v[18:19], s[24:25]
	v_mul_f64 v[18:19], v[18:19], s[46:47]
	v_fma_f64 v[104:105], v[16:17], s[10:11], v[104:105]
	v_fma_f64 v[122:123], v[16:17], s[36:37], v[116:117]
	;; [unrolled: 1-line block ×5, first 2 shown]
	v_mul_f64 v[54:55], v[54:55], s[44:45]
	v_fma_f64 v[106:107], v[16:17], s[26:27], v[62:63]
	v_fma_f64 v[62:63], v[16:17], s[22:23], v[62:63]
	v_fma_f64 v[118:119], v[58:59], s[40:41], -v[118:119]
	v_fma_f64 v[120:121], v[16:17], s[38:39], v[120:121]
	v_add_f64 v[130:131], v[20:21], v[50:51]
	v_add_f64 v[20:21], v[20:21], -v[50:51]
	v_mul_f64 v[50:51], v[22:23], s[22:23]
	v_mul_f64 v[132:133], v[128:129], s[24:25]
	v_fma_f64 v[134:135], v[16:17], s[48:49], v[18:19]
	v_fma_f64 v[16:17], v[16:17], s[44:45], v[18:19]
	v_fma_f64 v[60:61], v[58:59], s[8:9], -v[60:61]
	v_add_f64 v[64:65], v[8:9], v[64:65]
	v_add_f64 v[66:67], v[10:11], v[66:67]
	;; [unrolled: 1-line block ×3, first 2 shown]
	v_fma_f64 v[48:49], v[58:59], s[24:25], v[68:69]
	v_fma_f64 v[68:69], v[58:59], s[24:25], -v[68:69]
	v_fma_f64 v[108:109], v[58:59], s[18:19], v[70:71]
	v_add_f64 v[106:107], v[10:11], v[106:107]
	v_add_f64 v[62:63], v[10:11], v[62:63]
	;; [unrolled: 1-line block ×3, first 2 shown]
	v_fma_f64 v[70:71], v[58:59], s[18:19], -v[70:71]
	v_fma_f64 v[114:115], v[58:59], s[34:35], v[112:113]
	v_fma_f64 v[112:113], v[58:59], s[34:35], -v[112:113]
	v_add_f64 v[104:105], v[10:11], v[104:105]
	v_add_f64 v[122:123], v[10:11], v[122:123]
	;; [unrolled: 1-line block ×4, first 2 shown]
	v_fma_f64 v[52:53], v[58:59], s[46:47], v[54:55]
	v_fma_f64 v[54:55], v[58:59], s[46:47], -v[54:55]
	v_add_f64 v[18:19], v[8:9], v[118:119]
	v_add_f64 v[58:59], v[10:11], v[120:121]
	v_fma_f64 v[118:119], v[130:131], s[24:25], v[50:51]
	v_fma_f64 v[120:121], v[20:21], s[26:27], v[132:133]
	v_add_f64 v[134:135], v[10:11], v[134:135]
	v_add_f64 v[10:11], v[10:11], v[16:17]
	v_mul_f64 v[16:17], v[22:23], s[28:29]
	v_add_f64 v[60:61], v[8:9], v[60:61]
	v_add_f64 v[48:49], v[8:9], v[48:49]
	;; [unrolled: 1-line block ×10, first 2 shown]
	v_mul_f64 v[54:55], v[128:129], s[34:35]
	v_add_f64 v[64:65], v[118:119], v[64:65]
	v_add_f64 v[66:67], v[120:121], v[66:67]
	v_fma_f64 v[50:51], v[130:131], s[24:25], -v[50:51]
	v_fma_f64 v[118:119], v[20:21], s[22:23], v[132:133]
	v_mul_f64 v[120:121], v[22:23], s[44:45]
	v_mul_f64 v[132:133], v[128:129], s[46:47]
	v_fma_f64 v[136:137], v[130:131], s[34:35], v[16:17]
	v_fma_f64 v[16:17], v[130:131], s[34:35], -v[16:17]
	v_fma_f64 v[138:139], v[20:21], s[36:37], v[54:55]
	v_fma_f64 v[54:55], v[20:21], s[28:29], v[54:55]
	v_add_f64 v[50:51], v[50:51], v[60:61]
	v_add_f64 v[12:13], v[118:119], v[12:13]
	v_fma_f64 v[60:61], v[130:131], s[46:47], v[120:121]
	v_fma_f64 v[118:119], v[20:21], s[48:49], v[132:133]
	v_fma_f64 v[120:121], v[130:131], s[46:47], -v[120:121]
	v_add_f64 v[16:17], v[16:17], v[68:69]
	v_mul_f64 v[68:69], v[128:129], s[40:41]
	v_add_f64 v[106:107], v[138:139], v[106:107]
	v_add_f64 v[54:55], v[54:55], v[62:63]
	v_mul_f64 v[62:63], v[22:23], s[42:43]
	v_add_f64 v[60:61], v[60:61], v[108:109]
	v_add_f64 v[108:109], v[118:119], v[110:111]
	v_mul_f64 v[110:111], v[22:23], s[20:21]
	v_mul_f64 v[118:119], v[128:129], s[18:19]
	v_fma_f64 v[138:139], v[20:21], s[38:39], v[68:69]
	v_add_f64 v[48:49], v[136:137], v[48:49]
	v_fma_f64 v[68:69], v[20:21], s[42:43], v[68:69]
	v_fma_f64 v[136:137], v[130:131], s[40:41], v[62:63]
	v_fma_f64 v[62:63], v[130:131], s[40:41], -v[62:63]
	v_add_f64 v[70:71], v[120:121], v[70:71]
	v_fma_f64 v[140:141], v[130:131], s[18:19], v[110:111]
	v_fma_f64 v[142:143], v[20:21], s[10:11], v[118:119]
	v_add_f64 v[120:121], v[138:139], v[122:123]
	v_add_f64 v[122:123], v[40:41], -v[14:15]
	v_add_f64 v[14:15], v[40:41], v[14:15]
	v_fma_f64 v[132:133], v[20:21], s[44:45], v[132:133]
	v_add_f64 v[62:63], v[62:63], v[112:113]
	v_add_f64 v[68:69], v[68:69], v[116:117]
	;; [unrolled: 1-line block ×4, first 2 shown]
	v_mul_f64 v[22:23], v[22:23], s[30:31]
	v_mul_f64 v[40:41], v[128:129], s[8:9]
	v_fma_f64 v[110:111], v[130:131], s[18:19], -v[110:111]
	v_fma_f64 v[118:119], v[20:21], s[20:21], v[118:119]
	v_add_f64 v[124:125], v[38:39], v[56:57]
	v_add_f64 v[38:39], v[38:39], -v[56:57]
	v_mul_f64 v[56:57], v[122:123], s[10:11]
	v_mul_f64 v[126:127], v[14:15], s[18:19]
	v_add_f64 v[104:105], v[132:133], v[104:105]
	v_fma_f64 v[128:129], v[130:131], s[8:9], v[22:23]
	v_fma_f64 v[132:133], v[20:21], s[16:17], v[40:41]
	v_fma_f64 v[22:23], v[130:131], s[8:9], -v[22:23]
	v_fma_f64 v[20:21], v[20:21], s[30:31], v[40:41]
	v_add_f64 v[18:19], v[110:111], v[18:19]
	v_add_f64 v[40:41], v[118:119], v[58:59]
	v_fma_f64 v[58:59], v[124:125], s[18:19], v[56:57]
	v_fma_f64 v[110:111], v[38:39], s[20:21], v[126:127]
	v_fma_f64 v[56:57], v[124:125], s[18:19], -v[56:57]
	v_add_f64 v[52:53], v[128:129], v[52:53]
	v_add_f64 v[8:9], v[22:23], v[8:9]
	;; [unrolled: 1-line block ×3, first 2 shown]
	v_mul_f64 v[20:21], v[122:123], s[44:45]
	v_mul_f64 v[22:23], v[14:15], s[46:47]
	v_add_f64 v[58:59], v[58:59], v[64:65]
	v_add_f64 v[64:65], v[110:111], v[66:67]
	v_fma_f64 v[66:67], v[38:39], s[10:11], v[126:127]
	v_mul_f64 v[110:111], v[122:123], s[36:37]
	v_mul_f64 v[126:127], v[14:15], s[34:35]
	v_add_f64 v[50:51], v[56:57], v[50:51]
	v_fma_f64 v[128:129], v[124:125], s[46:47], v[20:21]
	v_fma_f64 v[130:131], v[38:39], s[48:49], v[22:23]
	v_fma_f64 v[20:21], v[124:125], s[46:47], -v[20:21]
	v_fma_f64 v[22:23], v[38:39], s[44:45], v[22:23]
	v_add_f64 v[12:13], v[66:67], v[12:13]
	v_fma_f64 v[56:57], v[124:125], s[34:35], v[110:111]
	v_fma_f64 v[66:67], v[38:39], s[28:29], v[126:127]
	v_add_f64 v[118:119], v[132:133], v[134:135]
	v_add_f64 v[48:49], v[128:129], v[48:49]
	;; [unrolled: 1-line block ×5, first 2 shown]
	v_mul_f64 v[22:23], v[122:123], s[30:31]
	v_add_f64 v[56:57], v[56:57], v[60:61]
	v_add_f64 v[60:61], v[66:67], v[108:109]
	v_mul_f64 v[66:67], v[122:123], s[22:23]
	v_mul_f64 v[54:55], v[14:15], s[8:9]
	;; [unrolled: 1-line block ×3, first 2 shown]
	v_add_f64 v[106:107], v[130:131], v[106:107]
	v_fma_f64 v[110:111], v[124:125], s[34:35], -v[110:111]
	v_fma_f64 v[128:129], v[124:125], s[8:9], v[22:23]
	v_fma_f64 v[22:23], v[124:125], s[8:9], -v[22:23]
	v_fma_f64 v[126:127], v[38:39], s[36:37], v[126:127]
	v_fma_f64 v[132:133], v[124:125], s[24:25], v[66:67]
	;; [unrolled: 1-line block ×5, first 2 shown]
	v_add_f64 v[70:71], v[110:111], v[70:71]
	v_add_f64 v[110:111], v[128:129], v[114:115]
	;; [unrolled: 1-line block ×3, first 2 shown]
	v_mul_f64 v[14:15], v[14:15], s[40:41]
	v_add_f64 v[62:63], v[132:133], v[112:113]
	v_add_f64 v[112:113], v[34:35], -v[46:47]
	v_add_f64 v[34:35], v[34:35], v[46:47]
	v_add_f64 v[114:115], v[130:131], v[120:121]
	;; [unrolled: 1-line block ×4, first 2 shown]
	v_mul_f64 v[46:47], v[122:123], s[38:39]
	v_fma_f64 v[66:67], v[124:125], s[24:25], -v[66:67]
	v_fma_f64 v[108:109], v[38:39], s[22:23], v[108:109]
	v_add_f64 v[116:117], v[42:43], v[44:45]
	v_add_f64 v[42:43], v[42:43], -v[44:45]
	v_mul_f64 v[44:45], v[112:113], s[28:29]
	v_mul_f64 v[120:121], v[34:35], s[34:35]
	v_add_f64 v[104:105], v[126:127], v[104:105]
	v_fma_f64 v[122:123], v[124:125], s[40:41], v[46:47]
	v_fma_f64 v[126:127], v[38:39], s[42:43], v[14:15]
	v_fma_f64 v[46:47], v[124:125], s[40:41], -v[46:47]
	v_fma_f64 v[14:15], v[38:39], s[38:39], v[14:15]
	v_add_f64 v[18:19], v[66:67], v[18:19]
	v_add_f64 v[38:39], v[108:109], v[40:41]
	v_fma_f64 v[40:41], v[116:117], s[34:35], v[44:45]
	v_fma_f64 v[66:67], v[42:43], s[36:37], v[120:121]
	v_fma_f64 v[44:45], v[116:117], s[34:35], -v[44:45]
	v_add_f64 v[108:109], v[126:127], v[118:119]
	v_add_f64 v[8:9], v[46:47], v[8:9]
	;; [unrolled: 1-line block ×3, first 2 shown]
	v_mul_f64 v[14:15], v[112:113], s[42:43]
	v_mul_f64 v[46:47], v[34:35], s[40:41]
	v_add_f64 v[40:41], v[40:41], v[58:59]
	v_add_f64 v[58:59], v[66:67], v[64:65]
	v_fma_f64 v[64:65], v[42:43], s[28:29], v[120:121]
	v_mul_f64 v[66:67], v[112:113], s[30:31]
	v_mul_f64 v[118:119], v[34:35], s[8:9]
	v_add_f64 v[52:53], v[122:123], v[52:53]
	v_fma_f64 v[120:121], v[116:117], s[40:41], v[14:15]
	v_fma_f64 v[122:123], v[42:43], s[38:39], v[46:47]
	v_fma_f64 v[14:15], v[116:117], s[40:41], -v[14:15]
	v_fma_f64 v[46:47], v[42:43], s[42:43], v[46:47]
	v_add_f64 v[44:45], v[44:45], v[50:51]
	v_add_f64 v[12:13], v[64:65], v[12:13]
	v_fma_f64 v[50:51], v[116:117], s[8:9], v[66:67]
	v_fma_f64 v[64:65], v[42:43], s[16:17], v[118:119]
	v_add_f64 v[48:49], v[120:121], v[48:49]
	v_add_f64 v[106:107], v[122:123], v[106:107]
	;; [unrolled: 1-line block ×4, first 2 shown]
	v_mul_f64 v[20:21], v[112:113], s[10:11]
	v_mul_f64 v[46:47], v[34:35], s[18:19]
	v_add_f64 v[50:51], v[50:51], v[56:57]
	v_add_f64 v[56:57], v[64:65], v[60:61]
	v_fma_f64 v[60:61], v[116:117], s[8:9], -v[66:67]
	v_fma_f64 v[64:65], v[42:43], s[30:31], v[118:119]
	v_mul_f64 v[66:67], v[112:113], s[48:49]
	v_mul_f64 v[118:119], v[34:35], s[46:47]
	v_fma_f64 v[120:121], v[116:117], s[18:19], v[20:21]
	v_fma_f64 v[122:123], v[42:43], s[20:21], v[46:47]
	v_fma_f64 v[20:21], v[116:117], s[18:19], -v[20:21]
	v_fma_f64 v[46:47], v[42:43], s[10:11], v[46:47]
	v_add_f64 v[60:61], v[60:61], v[70:71]
	v_add_f64 v[64:65], v[64:65], v[104:105]
	v_fma_f64 v[70:71], v[116:117], s[46:47], v[66:67]
	v_fma_f64 v[104:105], v[42:43], s[44:45], v[118:119]
	v_mul_f64 v[34:35], v[34:35], s[24:25]
	v_add_f64 v[110:111], v[120:121], v[110:111]
	v_add_f64 v[20:21], v[20:21], v[22:23]
	;; [unrolled: 1-line block ×3, first 2 shown]
	v_mul_f64 v[46:47], v[112:113], s[26:27]
	v_add_f64 v[112:113], v[30:31], v[32:33]
	v_add_f64 v[54:55], v[70:71], v[62:63]
	;; [unrolled: 1-line block ×3, first 2 shown]
	v_add_f64 v[68:69], v[36:37], -v[24:25]
	v_add_f64 v[24:25], v[36:37], v[24:25]
	v_fma_f64 v[36:37], v[116:117], s[46:47], -v[66:67]
	v_fma_f64 v[66:67], v[42:43], s[48:49], v[118:119]
	v_fma_f64 v[70:71], v[116:117], s[24:25], v[46:47]
	v_add_f64 v[30:31], v[30:31], -v[32:33]
	v_fma_f64 v[104:105], v[42:43], s[22:23], v[34:35]
	v_fma_f64 v[46:47], v[116:117], s[24:25], -v[46:47]
	v_mul_f64 v[32:33], v[68:69], s[38:39]
	v_mul_f64 v[118:119], v[24:25], s[40:41]
	v_fma_f64 v[34:35], v[42:43], s[26:27], v[34:35]
	v_add_f64 v[18:19], v[36:37], v[18:19]
	v_add_f64 v[36:37], v[66:67], v[38:39]
	;; [unrolled: 1-line block ×5, first 2 shown]
	v_fma_f64 v[52:53], v[112:113], s[40:41], v[32:33]
	v_fma_f64 v[66:67], v[30:31], s[42:43], v[118:119]
	v_add_f64 v[10:11], v[34:35], v[10:11]
	v_mul_f64 v[34:35], v[68:69], s[20:21]
	v_mul_f64 v[46:47], v[24:25], s[18:19]
	v_fma_f64 v[32:33], v[112:113], s[40:41], -v[32:33]
	v_fma_f64 v[70:71], v[30:31], s[38:39], v[118:119]
	v_add_f64 v[114:115], v[122:123], v[114:115]
	v_add_f64 v[40:41], v[52:53], v[40:41]
	;; [unrolled: 1-line block ×3, first 2 shown]
	v_mul_f64 v[58:59], v[68:69], s[22:23]
	v_mul_f64 v[66:67], v[24:25], s[24:25]
	v_fma_f64 v[104:105], v[112:113], s[18:19], v[34:35]
	v_fma_f64 v[108:109], v[30:31], s[10:11], v[46:47]
	v_add_f64 v[32:33], v[32:33], v[44:45]
	v_add_f64 v[12:13], v[70:71], v[12:13]
	v_fma_f64 v[44:45], v[30:31], s[20:21], v[46:47]
	v_fma_f64 v[34:35], v[112:113], s[18:19], -v[34:35]
	v_fma_f64 v[46:47], v[112:113], s[24:25], v[58:59]
	v_fma_f64 v[70:71], v[30:31], s[26:27], v[66:67]
	v_add_f64 v[48:49], v[104:105], v[48:49]
	v_add_f64 v[104:105], v[108:109], v[106:107]
	v_mul_f64 v[106:107], v[68:69], s[48:49]
	v_mul_f64 v[108:109], v[24:25], s[46:47]
	v_add_f64 v[16:17], v[44:45], v[16:17]
	v_add_f64 v[34:35], v[34:35], v[14:15]
	;; [unrolled: 1-line block ×4, first 2 shown]
	v_fma_f64 v[50:51], v[30:31], s[22:23], v[66:67]
	v_mul_f64 v[70:71], v[24:25], s[8:9]
	v_fma_f64 v[14:15], v[112:113], s[24:25], -v[58:59]
	v_fma_f64 v[56:57], v[112:113], s[46:47], v[106:107]
	v_mul_f64 v[66:67], v[68:69], s[30:31]
	v_fma_f64 v[106:107], v[112:113], s[46:47], -v[106:107]
	v_fma_f64 v[58:59], v[30:31], s[44:45], v[108:109]
	v_fma_f64 v[108:109], v[30:31], s[48:49], v[108:109]
	v_add_f64 v[50:51], v[50:51], v[64:65]
	v_fma_f64 v[64:65], v[30:31], s[16:17], v[70:71]
	v_add_f64 v[60:61], v[14:15], v[60:61]
	v_fma_f64 v[70:71], v[30:31], s[30:31], v[70:71]
	v_fma_f64 v[14:15], v[112:113], s[8:9], v[66:67]
	v_add_f64 v[20:21], v[106:107], v[20:21]
	v_fma_f64 v[66:67], v[112:113], s[8:9], -v[66:67]
	v_mul_f64 v[68:69], v[68:69], s[28:29]
	v_mul_f64 v[24:25], v[24:25], s[34:35]
	v_add_f64 v[62:63], v[64:65], v[62:63]
	v_add_f64 v[64:65], v[2:3], -v[28:29]
	v_add_f64 v[106:107], v[2:3], v[28:29]
	v_add_f64 v[22:23], v[108:109], v[22:23]
	;; [unrolled: 1-line block ×5, first 2 shown]
	v_fma_f64 v[2:3], v[112:113], s[34:35], v[68:69]
	v_fma_f64 v[14:15], v[30:31], s[36:37], v[24:25]
	v_add_f64 v[70:71], v[0:1], v[26:27]
	v_add_f64 v[108:109], v[0:1], -v[26:27]
	v_mul_f64 v[0:1], v[64:65], s[44:45]
	v_mul_f64 v[26:27], v[106:107], s[46:47]
	v_add_f64 v[56:57], v[56:57], v[110:111]
	v_fma_f64 v[28:29], v[112:113], s[34:35], -v[68:69]
	v_fma_f64 v[24:25], v[30:31], s[28:29], v[24:25]
	v_add_f64 v[68:69], v[2:3], v[38:39]
	v_add_f64 v[110:111], v[14:15], v[42:43]
	v_mul_f64 v[2:3], v[64:65], s[30:31]
	v_mul_f64 v[30:31], v[106:107], s[8:9]
	v_fma_f64 v[14:15], v[70:71], s[46:47], v[0:1]
	v_fma_f64 v[36:37], v[108:109], s[48:49], v[26:27]
	v_fma_f64 v[0:1], v[70:71], s[46:47], -v[0:1]
	v_add_f64 v[58:59], v[58:59], v[114:115]
	v_add_f64 v[112:113], v[28:29], v[8:9]
	;; [unrolled: 1-line block ×3, first 2 shown]
	v_fma_f64 v[26:27], v[108:109], s[44:45], v[26:27]
	v_fma_f64 v[28:29], v[70:71], s[8:9], v[2:3]
	;; [unrolled: 1-line block ×3, first 2 shown]
	v_add_f64 v[8:9], v[14:15], v[40:41]
	v_add_f64 v[10:11], v[36:37], v[52:53]
	v_mul_f64 v[36:37], v[64:65], s[38:39]
	v_mul_f64 v[40:41], v[106:107], s[40:41]
	v_add_f64 v[24:25], v[0:1], v[32:33]
	v_fma_f64 v[0:1], v[70:71], s[8:9], -v[2:3]
	v_fma_f64 v[2:3], v[108:109], s[30:31], v[30:31]
	v_mul_f64 v[42:43], v[64:65], s[26:27]
	v_add_f64 v[26:27], v[26:27], v[12:13]
	v_add_f64 v[12:13], v[28:29], v[48:49]
	;; [unrolled: 1-line block ×3, first 2 shown]
	v_fma_f64 v[32:33], v[70:71], s[40:41], v[36:37]
	v_fma_f64 v[38:39], v[108:109], s[42:43], v[40:41]
	v_mul_f64 v[48:49], v[106:107], s[24:25]
	v_fma_f64 v[40:41], v[108:109], s[38:39], v[40:41]
	v_fma_f64 v[36:37], v[70:71], s[40:41], -v[36:37]
	v_add_f64 v[30:31], v[2:3], v[16:17]
	v_fma_f64 v[16:17], v[70:71], s[24:25], v[42:43]
	v_add_f64 v[28:29], v[0:1], v[34:35]
	v_add_f64 v[32:33], v[32:33], v[44:45]
	;; [unrolled: 1-line block ×3, first 2 shown]
	v_mul_f64 v[44:45], v[64:65], s[28:29]
	v_add_f64 v[2:3], v[40:41], v[50:51]
	v_fma_f64 v[40:41], v[70:71], s[24:25], -v[42:43]
	v_fma_f64 v[42:43], v[108:109], s[26:27], v[48:49]
	v_mul_f64 v[46:47], v[106:107], s[34:35]
	v_fma_f64 v[38:39], v[108:109], s[22:23], v[48:49]
	v_add_f64 v[0:1], v[36:37], v[60:61]
	v_add_f64 v[36:37], v[16:17], v[56:57]
	v_mul_f64 v[16:17], v[64:65], s[20:21]
	v_mul_f64 v[48:49], v[106:107], s[18:19]
	v_add_f64 v[40:41], v[40:41], v[20:21]
	v_add_f64 v[42:43], v[42:43], v[22:23]
	v_fma_f64 v[20:21], v[70:71], s[34:35], v[44:45]
	v_fma_f64 v[22:23], v[108:109], s[36:37], v[46:47]
	v_add_f64 v[38:39], v[38:39], v[58:59]
	v_fma_f64 v[50:51], v[70:71], s[34:35], -v[44:45]
	v_fma_f64 v[52:53], v[108:109], s[28:29], v[46:47]
	v_fma_f64 v[56:57], v[70:71], s[18:19], v[16:17]
	;; [unrolled: 1-line block ×3, first 2 shown]
	v_fma_f64 v[16:17], v[70:71], s[18:19], -v[16:17]
	v_fma_f64 v[60:61], v[108:109], s[20:21], v[48:49]
	v_add_f64 v[44:45], v[20:21], v[54:55]
	v_add_f64 v[46:47], v[22:23], v[62:63]
	;; [unrolled: 1-line block ×8, first 2 shown]
	ds_write_b128 v187, v[4:7]
	ds_write_b128 v187, v[8:11] offset:272
	ds_write_b128 v187, v[12:15] offset:544
	;; [unrolled: 1-line block ×12, first 2 shown]
	s_waitcnt lgkmcnt(0)
	s_barrier
	ds_read_b128 v[32:35], v186
	ds_read_b128 v[4:7], v186 offset:1360
	ds_read_b128 v[56:59], v186 offset:3536
	;; [unrolled: 1-line block ×9, first 2 shown]
	v_add_u32_e32 v68, 0x550, v200
	s_and_saveexec_b64 s[8:9], s[2:3]
	s_cbranch_execz .LBB0_19
; %bb.18:
	ds_read_b128 v[0:3], v186 offset:2720
	ds_read_b128 v[28:31], v186 offset:6256
	;; [unrolled: 1-line block ×5, first 2 shown]
.LBB0_19:
	s_or_b64 exec, exec, s[8:9]
	s_waitcnt lgkmcnt(7)
	v_mul_f64 v[10:11], v[88:89], v[56:57]
	s_waitcnt lgkmcnt(5)
	v_mul_f64 v[12:13], v[84:85], v[62:63]
	;; [unrolled: 2-line block ×3, first 2 shown]
	v_mul_f64 v[22:23], v[76:77], v[52:53]
	v_mul_f64 v[8:9], v[88:89], v[58:59]
	;; [unrolled: 1-line block ×5, first 2 shown]
	v_fma_f64 v[58:59], v[86:87], v[58:59], -v[10:11]
	v_fma_f64 v[10:11], v[82:83], v[60:61], v[12:13]
	v_fma_f64 v[12:13], v[74:75], v[52:53], v[20:21]
	v_fma_f64 v[20:21], v[74:75], v[54:55], -v[22:23]
	buffer_load_dword v71, off, s[64:67], 0 offset:136 ; 4-byte Folded Reload
	buffer_load_dword v72, off, s[64:67], 0 offset:140 ; 4-byte Folded Reload
	;; [unrolled: 1-line block ×4, first 2 shown]
	v_fma_f64 v[56:57], v[86:87], v[56:57], v[8:9]
	v_fma_f64 v[16:17], v[78:79], v[64:65], v[16:17]
	v_mul_f64 v[8:9], v[100:101], v[50:51]
	v_mul_f64 v[22:23], v[100:101], v[48:49]
	;; [unrolled: 1-line block ×3, first 2 shown]
	v_fma_f64 v[14:15], v[82:83], v[62:63], -v[14:15]
	v_mul_f64 v[60:61], v[96:97], v[44:45]
	v_mul_f64 v[64:65], v[92:93], v[40:41]
	v_add_f64 v[54:55], v[32:33], v[56:57]
	v_add_f64 v[62:63], v[10:11], v[16:17]
	v_fma_f64 v[48:49], v[98:99], v[48:49], v[8:9]
	v_mul_f64 v[8:9], v[92:93], v[42:43]
	v_fma_f64 v[22:23], v[98:99], v[50:51], -v[22:23]
	v_fma_f64 v[50:51], v[94:95], v[44:45], v[52:53]
	v_fma_f64 v[18:19], v[78:79], v[66:67], -v[18:19]
	v_fma_f64 v[46:47], v[94:95], v[46:47], -v[60:61]
	v_add_f64 v[44:45], v[54:55], v[10:11]
	v_fma_f64 v[52:53], v[62:63], -0.5, v[32:33]
	v_add_f64 v[54:55], v[58:59], -v[20:21]
	v_fma_f64 v[60:61], v[90:91], v[40:41], v[8:9]
	v_fma_f64 v[62:63], v[90:91], v[42:43], -v[64:65]
	s_mov_b32 s8, 0x134454ff
	s_mov_b32 s9, 0xbfee6f0e
	;; [unrolled: 1-line block ×3, first 2 shown]
	v_add_f64 v[42:43], v[44:45], v[16:17]
	s_mov_b32 s20, s8
	v_fma_f64 v[44:45], v[54:55], s[8:9], v[52:53]
	v_add_f64 v[64:65], v[14:15], -v[18:19]
	v_add_f64 v[66:67], v[56:57], -v[10:11]
	;; [unrolled: 1-line block ×3, first 2 shown]
	s_mov_b32 s16, 0x4755a5e
	s_mov_b32 s17, 0xbfe2cf23
	;; [unrolled: 1-line block ×6, first 2 shown]
	s_waitcnt vmcnt(0) lgkmcnt(0)
	v_mul_f64 v[8:9], v[73:74], v[38:39]
	v_mul_f64 v[40:41], v[73:74], v[36:37]
	v_add_f64 v[74:75], v[56:57], v[12:13]
	v_fma_f64 v[76:77], v[71:72], v[36:37], v[8:9]
	v_fma_f64 v[71:72], v[71:72], v[38:39], -v[40:41]
	v_add_f64 v[8:9], v[42:43], v[12:13]
	v_fma_f64 v[32:33], v[74:75], -0.5, v[32:33]
	v_fma_f64 v[40:41], v[54:55], s[20:21], v[52:53]
	v_add_f64 v[42:43], v[34:35], v[58:59]
	v_fma_f64 v[36:37], v[64:65], s[16:17], v[44:45]
	v_add_f64 v[38:39], v[66:67], v[69:70]
	v_add_f64 v[66:67], v[10:11], -v[56:57]
	v_add_f64 v[69:70], v[16:17], -v[12:13]
	v_add_f64 v[44:45], v[14:15], v[18:19]
	v_fma_f64 v[52:53], v[64:65], s[20:21], v[32:33]
	v_fma_f64 v[40:41], v[64:65], s[18:19], v[40:41]
	;; [unrolled: 1-line block ×3, first 2 shown]
	v_add_f64 v[42:43], v[42:43], v[14:15]
	v_add_f64 v[56:57], v[56:57], -v[12:13]
	v_fma_f64 v[12:13], v[38:39], s[10:11], v[36:37]
	v_add_f64 v[66:67], v[66:67], v[69:70]
	v_fma_f64 v[44:45], v[44:45], -0.5, v[34:35]
	v_fma_f64 v[52:53], v[54:55], s[16:17], v[52:53]
	v_fma_f64 v[32:33], v[38:39], s[10:11], v[40:41]
	;; [unrolled: 1-line block ×3, first 2 shown]
	v_add_f64 v[42:43], v[42:43], v[18:19]
	v_add_f64 v[54:55], v[58:59], v[20:21]
	v_add_f64 v[16:17], v[10:11], -v[16:17]
	v_add_f64 v[69:70], v[58:59], -v[14:15]
	v_fma_f64 v[64:65], v[56:57], s[20:21], v[44:45]
	v_fma_f64 v[36:37], v[66:67], s[10:11], v[52:53]
	v_add_f64 v[52:53], v[50:51], v[60:61]
	v_add_f64 v[73:74], v[20:21], -v[18:19]
	v_add_f64 v[10:11], v[42:43], v[20:21]
	v_fma_f64 v[34:35], v[54:55], -0.5, v[34:35]
	v_add_f64 v[42:43], v[4:5], v[48:49]
	v_fma_f64 v[44:45], v[56:57], s[8:9], v[44:45]
	v_fma_f64 v[40:41], v[66:67], s[10:11], v[38:39]
	v_add_f64 v[18:19], v[18:19], -v[20:21]
	v_fma_f64 v[52:53], v[52:53], -0.5, v[4:5]
	v_add_f64 v[54:55], v[22:23], -v[71:72]
	v_add_f64 v[14:15], v[14:15], -v[58:59]
	v_fma_f64 v[66:67], v[16:17], s[8:9], v[34:35]
	v_fma_f64 v[20:21], v[16:17], s[20:21], v[34:35]
	v_add_f64 v[34:35], v[42:43], v[50:51]
	v_fma_f64 v[38:39], v[16:17], s[18:19], v[64:65]
	v_add_f64 v[64:65], v[69:70], v[73:74]
	v_fma_f64 v[16:17], v[16:17], s[16:17], v[44:45]
	v_add_f64 v[69:70], v[48:49], -v[50:51]
	v_add_f64 v[73:74], v[76:77], -v[60:61]
	v_add_f64 v[44:45], v[48:49], v[76:77]
	v_fma_f64 v[66:67], v[56:57], s[18:19], v[66:67]
	v_fma_f64 v[20:21], v[56:57], s[16:17], v[20:21]
	v_add_f64 v[56:57], v[34:35], v[60:61]
	v_fma_f64 v[42:43], v[54:55], s[8:9], v[52:53]
	v_add_f64 v[58:59], v[46:47], -v[62:63]
	v_add_f64 v[18:19], v[14:15], v[18:19]
	v_fma_f64 v[34:35], v[64:65], s[10:11], v[16:17]
	v_add_f64 v[16:17], v[46:47], v[62:63]
	v_add_f64 v[69:70], v[69:70], v[73:74]
	v_fma_f64 v[73:74], v[44:45], -0.5, v[4:5]
	v_add_f64 v[4:5], v[56:57], v[76:77]
	v_add_f64 v[56:57], v[22:23], v[71:72]
	v_fma_f64 v[78:79], v[58:59], s[16:17], v[42:43]
	v_fma_f64 v[14:15], v[64:65], s[10:11], v[38:39]
	;; [unrolled: 1-line block ×5, first 2 shown]
	v_add_f64 v[52:53], v[50:51], -v[48:49]
	v_add_f64 v[64:65], v[60:61], -v[76:77]
	v_add_f64 v[66:67], v[6:7], v[22:23]
	v_fma_f64 v[16:17], v[16:17], -0.5, v[6:7]
	v_add_f64 v[48:49], v[48:49], -v[76:77]
	v_add_f64 v[50:51], v[50:51], -v[60:61]
	v_fma_f64 v[6:7], v[56:57], -0.5, v[6:7]
	v_fma_f64 v[20:21], v[58:59], s[20:21], v[73:74]
	v_fma_f64 v[18:19], v[58:59], s[18:19], v[18:19]
	v_add_f64 v[56:57], v[52:53], v[64:65]
	v_fma_f64 v[52:53], v[58:59], s[8:9], v[73:74]
	v_add_f64 v[58:59], v[66:67], v[46:47]
	v_fma_f64 v[60:61], v[48:49], s[20:21], v[16:17]
	v_add_f64 v[64:65], v[22:23], -v[46:47]
	v_add_f64 v[66:67], v[71:72], -v[62:63]
	v_fma_f64 v[73:74], v[50:51], s[8:9], v[6:7]
	v_add_f64 v[22:23], v[46:47], -v[22:23]
	v_add_f64 v[46:47], v[62:63], -v[71:72]
	v_fma_f64 v[16:17], v[48:49], s[8:9], v[16:17]
	v_fma_f64 v[6:7], v[50:51], s[20:21], v[6:7]
	v_add_f64 v[58:59], v[58:59], v[62:63]
	v_fma_f64 v[60:61], v[50:51], s[18:19], v[60:61]
	v_add_f64 v[62:63], v[64:65], v[66:67]
	v_fma_f64 v[20:21], v[54:55], s[16:17], v[20:21]
	v_fma_f64 v[54:55], v[54:55], s[18:19], v[52:53]
	v_fma_f64 v[64:65], v[48:49], s[18:19], v[73:74]
	v_add_f64 v[22:23], v[22:23], v[46:47]
	v_fma_f64 v[16:17], v[50:51], s[16:17], v[16:17]
	v_fma_f64 v[66:67], v[48:49], s[16:17], v[6:7]
	v_add_f64 v[6:7], v[58:59], v[71:72]
	v_fma_f64 v[44:45], v[69:70], s[10:11], v[78:79]
	v_fma_f64 v[46:47], v[62:63], s[10:11], v[60:61]
	;; [unrolled: 1-line block ×8, first 2 shown]
	ds_write_b128 v255, v[8:11]
	ds_write_b128 v255, v[12:15] offset:3536
	ds_write_b128 v255, v[36:39] offset:7072
	;; [unrolled: 1-line block ×9, first 2 shown]
	buffer_load_dword v4, off, s[64:67], 0  ; 4-byte Folded Reload
	s_waitcnt vmcnt(0)
	v_lshl_add_u32 v4, v4, 4, v182
	s_and_saveexec_b64 s[22:23], s[2:3]
	s_cbranch_execz .LBB0_21
; %bb.20:
	buffer_load_dword v44, off, s[64:67], 0 offset:200 ; 4-byte Folded Reload
	buffer_load_dword v45, off, s[64:67], 0 offset:204 ; 4-byte Folded Reload
	;; [unrolled: 1-line block ×16, first 2 shown]
	s_waitcnt vmcnt(12)
	v_mul_f64 v[5:6], v[46:47], v[24:25]
	s_waitcnt vmcnt(8)
	v_mul_f64 v[7:8], v[34:35], v[28:29]
	;; [unrolled: 2-line block ×4, first 2 shown]
	v_mul_f64 v[13:14], v[46:47], v[26:27]
	v_mul_f64 v[15:16], v[42:43], v[162:163]
	;; [unrolled: 1-line block ×4, first 2 shown]
	v_fma_f64 v[5:6], v[44:45], v[26:27], -v[5:6]
	v_fma_f64 v[7:8], v[32:33], v[30:31], -v[7:8]
	;; [unrolled: 1-line block ×4, first 2 shown]
	v_fma_f64 v[13:14], v[44:45], v[24:25], v[13:14]
	v_fma_f64 v[15:16], v[40:41], v[160:161], v[15:16]
	;; [unrolled: 1-line block ×4, first 2 shown]
	v_add_f64 v[23:24], v[5:6], -v[7:8]
	v_add_f64 v[19:20], v[7:8], v[9:10]
	v_add_f64 v[31:32], v[5:6], v[11:12]
	v_add_f64 v[25:26], v[11:12], -v[9:10]
	v_add_f64 v[27:28], v[13:14], -v[15:16]
	;; [unrolled: 1-line block ×5, first 2 shown]
	v_add_f64 v[37:38], v[2:3], v[7:8]
	v_fma_f64 v[19:20], v[19:20], -0.5, v[2:3]
	v_add_f64 v[43:44], v[7:8], -v[9:10]
	v_fma_f64 v[2:3], v[31:32], -0.5, v[2:3]
	v_add_f64 v[7:8], v[17:18], v[21:22]
	v_add_f64 v[47:48], v[13:14], v[15:16]
	;; [unrolled: 1-line block ×4, first 2 shown]
	v_add_f64 v[45:46], v[5:6], -v[11:12]
	v_fma_f64 v[31:32], v[27:28], s[20:21], v[19:20]
	v_fma_f64 v[19:20], v[27:28], s[8:9], v[19:20]
	;; [unrolled: 1-line block ×4, first 2 shown]
	v_add_f64 v[39:40], v[13:14], -v[17:18]
	v_add_f64 v[5:6], v[37:38], v[5:6]
	v_add_f64 v[17:18], v[17:18], -v[13:14]
	v_add_f64 v[13:14], v[49:50], v[13:14]
	v_fma_f64 v[31:32], v[29:30], s[16:17], v[31:32]
	v_fma_f64 v[19:20], v[29:30], s[18:19], v[19:20]
	v_add_f64 v[29:30], v[33:34], v[35:36]
	v_fma_f64 v[33:34], v[7:8], -0.5, v[0:1]
	v_fma_f64 v[0:1], v[47:48], -0.5, v[0:1]
	v_fma_f64 v[25:26], v[27:28], s[16:17], v[25:26]
	v_fma_f64 v[27:28], v[27:28], s[18:19], v[2:3]
	v_add_f64 v[41:42], v[15:16], -v[21:22]
	v_fma_f64 v[2:3], v[23:24], s[10:11], v[31:32]
	v_fma_f64 v[7:8], v[23:24], s[10:11], v[19:20]
	v_add_f64 v[19:20], v[21:22], -v[15:16]
	v_fma_f64 v[31:32], v[45:46], s[20:21], v[33:34]
	v_fma_f64 v[23:24], v[43:44], s[8:9], v[0:1]
	;; [unrolled: 1-line block ×4, first 2 shown]
	v_add_f64 v[5:6], v[5:6], v[11:12]
	v_add_f64 v[13:14], v[13:14], v[15:16]
	;; [unrolled: 1-line block ×4, first 2 shown]
	v_fma_f64 v[31:32], v[43:44], s[16:17], v[31:32]
	v_fma_f64 v[23:24], v[45:46], s[16:17], v[23:24]
	v_fma_f64 v[33:34], v[43:44], s[18:19], v[33:34]
	v_fma_f64 v[39:40], v[45:46], s[18:19], v[0:1]
	v_add_f64 v[19:20], v[5:6], v[9:10]
	v_add_f64 v[17:18], v[13:14], v[21:22]
	v_fma_f64 v[15:16], v[29:30], s[10:11], v[27:28]
	v_fma_f64 v[11:12], v[29:30], s[10:11], v[25:26]
	;; [unrolled: 1-line block ×6, first 2 shown]
	ds_write_b128 v4, v[17:20] offset:2720
	ds_write_b128 v4, v[13:16] offset:6256
	;; [unrolled: 1-line block ×5, first 2 shown]
.LBB0_21:
	s_or_b64 exec, exec, s[22:23]
	s_waitcnt lgkmcnt(0)
	s_barrier
	buffer_load_dword v19, off, s[64:67], 0 offset:24 ; 4-byte Folded Reload
	buffer_load_dword v20, off, s[64:67], 0 offset:28 ; 4-byte Folded Reload
	s_and_b64 s[0:1], exec, s[0:1]
	s_mov_b64 exec, s[0:1]
	s_cbranch_execz .LBB0_23
; %bb.22:
	global_load_dwordx4 v[0:3], v182, s[12:13]
	buffer_load_dword v21, off, s[64:67], 0 offset:32 ; 4-byte Folded Reload
	ds_read_b128 v[5:8], v255
	s_waitcnt vmcnt(3)
	v_mad_u64_u32 v[13:14], s[0:1], s6, v19, 0
	ds_read_b128 v[9:12], v4 offset:1040
	s_mul_i32 s3, s5, 0x410
	s_mul_i32 s2, s4, 0x410
	s_waitcnt vmcnt(1) lgkmcnt(1)
	v_mul_f64 v[17:18], v[7:8], v[2:3]
	v_mul_f64 v[2:3], v[5:6], v[2:3]
	s_waitcnt vmcnt(0)
	v_mad_u64_u32 v[15:16], s[0:1], s4, v21, 0
	v_mad_u64_u32 v[19:20], s[0:1], s7, v19, v[14:15]
	v_fma_f64 v[5:6], v[5:6], v[0:1], v[17:18]
	v_fma_f64 v[2:3], v[0:1], v[7:8], -v[2:3]
	v_mad_u64_u32 v[20:21], s[0:1], s5, v21, v[16:17]
	s_mov_b32 s0, 0x1da7801e
	s_mov_b32 s1, 0x3f4da780
	v_mov_b32_e32 v14, v19
	v_lshlrev_b64 v[7:8], 4, v[13:14]
	v_mul_f64 v[0:1], v[5:6], s[0:1]
	v_mul_f64 v[2:3], v[2:3], s[0:1]
	v_mov_b32_e32 v16, v20
	v_mov_b32_e32 v17, s15
	v_lshlrev_b64 v[13:14], 4, v[15:16]
	v_add_co_u32_e32 v5, vcc, s14, v7
	v_addc_co_u32_e32 v6, vcc, v17, v8, vcc
	v_add_co_u32_e32 v5, vcc, v5, v13
	v_addc_co_u32_e32 v6, vcc, v6, v14, vcc
	global_store_dwordx4 v[5:6], v[0:3], off
	global_load_dwordx4 v[0:3], v182, s[12:13] offset:1040
	s_mul_hi_u32 s5, s4, 0x410
	s_add_i32 s3, s5, s3
	v_add_co_u32_e32 v13, vcc, s2, v5
	s_movk_i32 s4, 0x1000
	s_waitcnt vmcnt(0) lgkmcnt(0)
	v_mul_f64 v[7:8], v[11:12], v[2:3]
	v_mul_f64 v[2:3], v[9:10], v[2:3]
	v_fma_f64 v[7:8], v[9:10], v[0:1], v[7:8]
	v_fma_f64 v[2:3], v[0:1], v[11:12], -v[2:3]
	v_mul_f64 v[0:1], v[7:8], s[0:1]
	v_mul_f64 v[2:3], v[2:3], s[0:1]
	v_mov_b32_e32 v7, s3
	v_addc_co_u32_e32 v14, vcc, v6, v7, vcc
	global_store_dwordx4 v[13:14], v[0:3], off
	global_load_dwordx4 v[0:3], v182, s[12:13] offset:2080
	ds_read_b128 v[5:8], v4 offset:2080
	ds_read_b128 v[9:12], v4 offset:3120
	s_waitcnt vmcnt(0) lgkmcnt(1)
	v_mul_f64 v[15:16], v[7:8], v[2:3]
	v_mul_f64 v[2:3], v[5:6], v[2:3]
	v_fma_f64 v[5:6], v[5:6], v[0:1], v[15:16]
	v_fma_f64 v[2:3], v[0:1], v[7:8], -v[2:3]
	v_mul_f64 v[0:1], v[5:6], s[0:1]
	v_mul_f64 v[2:3], v[2:3], s[0:1]
	v_mov_b32_e32 v6, s3
	v_add_co_u32_e32 v5, vcc, s2, v13
	v_addc_co_u32_e32 v6, vcc, v14, v6, vcc
	v_mov_b32_e32 v13, s13
	v_add_co_u32_e32 v19, vcc, s12, v182
	global_store_dwordx4 v[5:6], v[0:3], off
	global_load_dwordx4 v[0:3], v182, s[12:13] offset:3120
	v_addc_co_u32_e32 v20, vcc, 0, v13, vcc
	v_add_co_u32_e32 v13, vcc, s4, v19
	v_addc_co_u32_e32 v14, vcc, 0, v20, vcc
	v_add_co_u32_e32 v15, vcc, s2, v5
	s_movk_i32 s4, 0x2000
	s_waitcnt vmcnt(0) lgkmcnt(0)
	v_mul_f64 v[7:8], v[11:12], v[2:3]
	v_mul_f64 v[2:3], v[9:10], v[2:3]
	v_fma_f64 v[7:8], v[9:10], v[0:1], v[7:8]
	v_fma_f64 v[2:3], v[0:1], v[11:12], -v[2:3]
	v_mov_b32_e32 v9, s3
	v_addc_co_u32_e32 v16, vcc, v6, v9, vcc
	v_mul_f64 v[0:1], v[7:8], s[0:1]
	v_mul_f64 v[2:3], v[2:3], s[0:1]
	global_store_dwordx4 v[15:16], v[0:3], off
	global_load_dwordx4 v[0:3], v[13:14], off offset:64
	ds_read_b128 v[5:8], v4 offset:4160
	ds_read_b128 v[9:12], v4 offset:5200
	s_waitcnt vmcnt(0) lgkmcnt(1)
	v_mul_f64 v[17:18], v[7:8], v[2:3]
	v_mul_f64 v[2:3], v[5:6], v[2:3]
	v_fma_f64 v[5:6], v[5:6], v[0:1], v[17:18]
	v_fma_f64 v[2:3], v[0:1], v[7:8], -v[2:3]
	v_mul_f64 v[0:1], v[5:6], s[0:1]
	v_mul_f64 v[2:3], v[2:3], s[0:1]
	v_mov_b32_e32 v6, s3
	v_add_co_u32_e32 v5, vcc, s2, v15
	v_addc_co_u32_e32 v6, vcc, v16, v6, vcc
	v_add_co_u32_e32 v15, vcc, s2, v5
	global_store_dwordx4 v[5:6], v[0:3], off
	global_load_dwordx4 v[0:3], v[13:14], off offset:1104
	s_waitcnt vmcnt(0) lgkmcnt(0)
	v_mul_f64 v[7:8], v[11:12], v[2:3]
	v_mul_f64 v[2:3], v[9:10], v[2:3]
	v_fma_f64 v[7:8], v[9:10], v[0:1], v[7:8]
	v_fma_f64 v[2:3], v[0:1], v[11:12], -v[2:3]
	v_mul_f64 v[0:1], v[7:8], s[0:1]
	v_mul_f64 v[2:3], v[2:3], s[0:1]
	v_mov_b32_e32 v7, s3
	v_addc_co_u32_e32 v16, vcc, v6, v7, vcc
	global_store_dwordx4 v[15:16], v[0:3], off
	global_load_dwordx4 v[0:3], v[13:14], off offset:2144
	ds_read_b128 v[5:8], v4 offset:6240
	ds_read_b128 v[9:12], v4 offset:7280
	s_waitcnt vmcnt(0) lgkmcnt(1)
	v_mul_f64 v[17:18], v[7:8], v[2:3]
	v_mul_f64 v[2:3], v[5:6], v[2:3]
	v_fma_f64 v[5:6], v[5:6], v[0:1], v[17:18]
	v_fma_f64 v[2:3], v[0:1], v[7:8], -v[2:3]
	v_mul_f64 v[0:1], v[5:6], s[0:1]
	v_mul_f64 v[2:3], v[2:3], s[0:1]
	v_mov_b32_e32 v6, s3
	v_add_co_u32_e32 v5, vcc, s2, v15
	v_addc_co_u32_e32 v6, vcc, v16, v6, vcc
	global_store_dwordx4 v[5:6], v[0:3], off
	global_load_dwordx4 v[0:3], v[13:14], off offset:3184
	v_add_co_u32_e32 v13, vcc, s4, v19
	v_addc_co_u32_e32 v14, vcc, 0, v20, vcc
	v_add_co_u32_e32 v15, vcc, s2, v5
	s_movk_i32 s4, 0x3000
	s_waitcnt vmcnt(0) lgkmcnt(0)
	v_mul_f64 v[7:8], v[11:12], v[2:3]
	v_mul_f64 v[2:3], v[9:10], v[2:3]
	v_fma_f64 v[7:8], v[9:10], v[0:1], v[7:8]
	v_fma_f64 v[2:3], v[0:1], v[11:12], -v[2:3]
	v_mov_b32_e32 v9, s3
	v_addc_co_u32_e32 v16, vcc, v6, v9, vcc
	v_mul_f64 v[0:1], v[7:8], s[0:1]
	v_mul_f64 v[2:3], v[2:3], s[0:1]
	global_store_dwordx4 v[15:16], v[0:3], off
	global_load_dwordx4 v[0:3], v[13:14], off offset:128
	ds_read_b128 v[5:8], v4 offset:8320
	ds_read_b128 v[9:12], v4 offset:9360
	s_waitcnt vmcnt(0) lgkmcnt(1)
	v_mul_f64 v[17:18], v[7:8], v[2:3]
	v_mul_f64 v[2:3], v[5:6], v[2:3]
	v_fma_f64 v[5:6], v[5:6], v[0:1], v[17:18]
	v_fma_f64 v[2:3], v[0:1], v[7:8], -v[2:3]
	v_mul_f64 v[0:1], v[5:6], s[0:1]
	v_mul_f64 v[2:3], v[2:3], s[0:1]
	v_mov_b32_e32 v6, s3
	v_add_co_u32_e32 v5, vcc, s2, v15
	v_addc_co_u32_e32 v6, vcc, v16, v6, vcc
	v_add_co_u32_e32 v15, vcc, s2, v5
	global_store_dwordx4 v[5:6], v[0:3], off
	global_load_dwordx4 v[0:3], v[13:14], off offset:1168
	s_waitcnt vmcnt(0) lgkmcnt(0)
	v_mul_f64 v[7:8], v[11:12], v[2:3]
	v_mul_f64 v[2:3], v[9:10], v[2:3]
	v_fma_f64 v[7:8], v[9:10], v[0:1], v[7:8]
	v_fma_f64 v[2:3], v[0:1], v[11:12], -v[2:3]
	v_mul_f64 v[0:1], v[7:8], s[0:1]
	v_mul_f64 v[2:3], v[2:3], s[0:1]
	v_mov_b32_e32 v7, s3
	v_addc_co_u32_e32 v16, vcc, v6, v7, vcc
	global_store_dwordx4 v[15:16], v[0:3], off
	global_load_dwordx4 v[0:3], v[13:14], off offset:2208
	ds_read_b128 v[5:8], v4 offset:10400
	ds_read_b128 v[9:12], v4 offset:11440
	s_waitcnt vmcnt(0) lgkmcnt(1)
	v_mul_f64 v[17:18], v[7:8], v[2:3]
	v_mul_f64 v[2:3], v[5:6], v[2:3]
	v_fma_f64 v[5:6], v[5:6], v[0:1], v[17:18]
	v_fma_f64 v[2:3], v[0:1], v[7:8], -v[2:3]
	v_mul_f64 v[0:1], v[5:6], s[0:1]
	v_mul_f64 v[2:3], v[2:3], s[0:1]
	v_mov_b32_e32 v6, s3
	v_add_co_u32_e32 v5, vcc, s2, v15
	v_addc_co_u32_e32 v6, vcc, v16, v6, vcc
	global_store_dwordx4 v[5:6], v[0:3], off
	global_load_dwordx4 v[0:3], v[13:14], off offset:3248
	;; [unrolled: 55-line block ×3, first 2 shown]
	s_waitcnt vmcnt(0) lgkmcnt(0)
	v_mul_f64 v[7:8], v[11:12], v[2:3]
	v_mul_f64 v[2:3], v[9:10], v[2:3]
	v_fma_f64 v[7:8], v[9:10], v[0:1], v[7:8]
	v_fma_f64 v[2:3], v[0:1], v[11:12], -v[2:3]
	v_mov_b32_e32 v10, s3
	v_mul_f64 v[0:1], v[7:8], s[0:1]
	v_mul_f64 v[2:3], v[2:3], s[0:1]
	v_add_co_u32_e32 v7, vcc, s4, v19
	v_addc_co_u32_e32 v8, vcc, 0, v20, vcc
	v_add_co_u32_e32 v9, vcc, s2, v5
	v_addc_co_u32_e32 v10, vcc, v6, v10, vcc
	global_store_dwordx4 v[9:10], v[0:3], off
	global_load_dwordx4 v[0:3], v[7:8], off offset:256
	ds_read_b128 v[4:7], v4 offset:16640
	s_waitcnt vmcnt(0) lgkmcnt(0)
	v_mul_f64 v[11:12], v[6:7], v[2:3]
	v_mul_f64 v[2:3], v[4:5], v[2:3]
	v_fma_f64 v[4:5], v[4:5], v[0:1], v[11:12]
	v_fma_f64 v[2:3], v[0:1], v[6:7], -v[2:3]
	v_mul_f64 v[0:1], v[4:5], s[0:1]
	v_mul_f64 v[2:3], v[2:3], s[0:1]
	v_mov_b32_e32 v5, s3
	v_add_co_u32_e32 v4, vcc, s2, v9
	v_addc_co_u32_e32 v5, vcc, v10, v5, vcc
	global_store_dwordx4 v[4:5], v[0:3], off
.LBB0_23:
	s_endpgm
	.section	.rodata,"a",@progbits
	.p2align	6, 0x0
	.amdhsa_kernel bluestein_single_back_len1105_dim1_dp_op_CI_CI
		.amdhsa_group_segment_fixed_size 53040
		.amdhsa_private_segment_fixed_size 556
		.amdhsa_kernarg_size 104
		.amdhsa_user_sgpr_count 6
		.amdhsa_user_sgpr_private_segment_buffer 1
		.amdhsa_user_sgpr_dispatch_ptr 0
		.amdhsa_user_sgpr_queue_ptr 0
		.amdhsa_user_sgpr_kernarg_segment_ptr 1
		.amdhsa_user_sgpr_dispatch_id 0
		.amdhsa_user_sgpr_flat_scratch_init 0
		.amdhsa_user_sgpr_private_segment_size 0
		.amdhsa_uses_dynamic_stack 0
		.amdhsa_system_sgpr_private_segment_wavefront_offset 1
		.amdhsa_system_sgpr_workgroup_id_x 1
		.amdhsa_system_sgpr_workgroup_id_y 0
		.amdhsa_system_sgpr_workgroup_id_z 0
		.amdhsa_system_sgpr_workgroup_info 0
		.amdhsa_system_vgpr_workitem_id 0
		.amdhsa_next_free_vgpr 256
		.amdhsa_next_free_sgpr 68
		.amdhsa_reserve_vcc 1
		.amdhsa_reserve_flat_scratch 0
		.amdhsa_float_round_mode_32 0
		.amdhsa_float_round_mode_16_64 0
		.amdhsa_float_denorm_mode_32 3
		.amdhsa_float_denorm_mode_16_64 3
		.amdhsa_dx10_clamp 1
		.amdhsa_ieee_mode 1
		.amdhsa_fp16_overflow 0
		.amdhsa_exception_fp_ieee_invalid_op 0
		.amdhsa_exception_fp_denorm_src 0
		.amdhsa_exception_fp_ieee_div_zero 0
		.amdhsa_exception_fp_ieee_overflow 0
		.amdhsa_exception_fp_ieee_underflow 0
		.amdhsa_exception_fp_ieee_inexact 0
		.amdhsa_exception_int_div_zero 0
	.end_amdhsa_kernel
	.text
.Lfunc_end0:
	.size	bluestein_single_back_len1105_dim1_dp_op_CI_CI, .Lfunc_end0-bluestein_single_back_len1105_dim1_dp_op_CI_CI
                                        ; -- End function
	.section	.AMDGPU.csdata,"",@progbits
; Kernel info:
; codeLenInByte = 35300
; NumSgprs: 72
; NumVgprs: 256
; ScratchSize: 556
; MemoryBound: 0
; FloatMode: 240
; IeeeMode: 1
; LDSByteSize: 53040 bytes/workgroup (compile time only)
; SGPRBlocks: 8
; VGPRBlocks: 63
; NumSGPRsForWavesPerEU: 72
; NumVGPRsForWavesPerEU: 256
; Occupancy: 1
; WaveLimiterHint : 1
; COMPUTE_PGM_RSRC2:SCRATCH_EN: 1
; COMPUTE_PGM_RSRC2:USER_SGPR: 6
; COMPUTE_PGM_RSRC2:TRAP_HANDLER: 0
; COMPUTE_PGM_RSRC2:TGID_X_EN: 1
; COMPUTE_PGM_RSRC2:TGID_Y_EN: 0
; COMPUTE_PGM_RSRC2:TGID_Z_EN: 0
; COMPUTE_PGM_RSRC2:TIDIG_COMP_CNT: 0
	.type	__hip_cuid_5635345ce89ff7d2,@object ; @__hip_cuid_5635345ce89ff7d2
	.section	.bss,"aw",@nobits
	.globl	__hip_cuid_5635345ce89ff7d2
__hip_cuid_5635345ce89ff7d2:
	.byte	0                               ; 0x0
	.size	__hip_cuid_5635345ce89ff7d2, 1

	.ident	"AMD clang version 19.0.0git (https://github.com/RadeonOpenCompute/llvm-project roc-6.4.0 25133 c7fe45cf4b819c5991fe208aaa96edf142730f1d)"
	.section	".note.GNU-stack","",@progbits
	.addrsig
	.addrsig_sym __hip_cuid_5635345ce89ff7d2
	.amdgpu_metadata
---
amdhsa.kernels:
  - .args:
      - .actual_access:  read_only
        .address_space:  global
        .offset:         0
        .size:           8
        .value_kind:     global_buffer
      - .actual_access:  read_only
        .address_space:  global
        .offset:         8
        .size:           8
        .value_kind:     global_buffer
      - .actual_access:  read_only
        .address_space:  global
        .offset:         16
        .size:           8
        .value_kind:     global_buffer
      - .actual_access:  read_only
        .address_space:  global
        .offset:         24
        .size:           8
        .value_kind:     global_buffer
      - .actual_access:  read_only
        .address_space:  global
        .offset:         32
        .size:           8
        .value_kind:     global_buffer
      - .offset:         40
        .size:           8
        .value_kind:     by_value
      - .address_space:  global
        .offset:         48
        .size:           8
        .value_kind:     global_buffer
      - .address_space:  global
        .offset:         56
        .size:           8
        .value_kind:     global_buffer
      - .address_space:  global
        .offset:         64
        .size:           8
        .value_kind:     global_buffer
      - .address_space:  global
        .offset:         72
        .size:           8
        .value_kind:     global_buffer
      - .offset:         80
        .size:           4
        .value_kind:     by_value
      - .address_space:  global
        .offset:         88
        .size:           8
        .value_kind:     global_buffer
      - .address_space:  global
        .offset:         96
        .size:           8
        .value_kind:     global_buffer
    .group_segment_fixed_size: 53040
    .kernarg_segment_align: 8
    .kernarg_segment_size: 104
    .language:       OpenCL C
    .language_version:
      - 2
      - 0
    .max_flat_workgroup_size: 255
    .name:           bluestein_single_back_len1105_dim1_dp_op_CI_CI
    .private_segment_fixed_size: 556
    .sgpr_count:     72
    .sgpr_spill_count: 0
    .symbol:         bluestein_single_back_len1105_dim1_dp_op_CI_CI.kd
    .uniform_work_group_size: 1
    .uses_dynamic_stack: false
    .vgpr_count:     256
    .vgpr_spill_count: 205
    .wavefront_size: 64
amdhsa.target:   amdgcn-amd-amdhsa--gfx906
amdhsa.version:
  - 1
  - 2
...

	.end_amdgpu_metadata
